;; amdgpu-corpus repo=ROCm/rocFFT kind=compiled arch=gfx950 opt=O3
	.text
	.amdgcn_target "amdgcn-amd-amdhsa--gfx950"
	.amdhsa_code_object_version 6
	.protected	bluestein_single_fwd_len396_dim1_sp_op_CI_CI ; -- Begin function bluestein_single_fwd_len396_dim1_sp_op_CI_CI
	.globl	bluestein_single_fwd_len396_dim1_sp_op_CI_CI
	.p2align	8
	.type	bluestein_single_fwd_len396_dim1_sp_op_CI_CI,@function
bluestein_single_fwd_len396_dim1_sp_op_CI_CI: ; @bluestein_single_fwd_len396_dim1_sp_op_CI_CI
; %bb.0:
	s_load_dwordx4 s[8:11], s[0:1], 0x28
	v_mul_u32_u24_e32 v1, 0x5d2, v0
	v_add_u32_sdwa v54, s2, v1 dst_sel:DWORD dst_unused:UNUSED_PAD src0_sel:DWORD src1_sel:WORD_1
	v_mov_b32_e32 v55, 0
	s_waitcnt lgkmcnt(0)
	v_cmp_gt_u64_e32 vcc, s[8:9], v[54:55]
	s_and_saveexec_b64 s[2:3], vcc
	s_cbranch_execz .LBB0_23
; %bb.1:
	s_load_dwordx2 s[2:3], s[0:1], 0x0
	s_load_dwordx2 s[8:9], s[0:1], 0x38
	v_mov_b32_e32 v2, 44
	v_mul_lo_u16_sdwa v1, v1, v2 dst_sel:DWORD dst_unused:UNUSED_PAD src0_sel:WORD_1 src1_sel:DWORD
	v_sub_u16_e32 v128, v0, v1
	v_cmp_gt_u16_e32 vcc, 36, v128
	v_lshlrev_b32_e32 v55, 3, v128
	s_and_saveexec_b64 s[12:13], vcc
	s_cbranch_execz .LBB0_3
; %bb.2:
	s_load_dwordx2 s[4:5], s[0:1], 0x18
	v_mov_b32_e32 v0, s10
	v_mov_b32_e32 v1, s11
	;; [unrolled: 1-line block ×3, first 2 shown]
	s_waitcnt lgkmcnt(0)
	s_load_dwordx4 s[4:7], s[4:5], 0x0
	s_waitcnt lgkmcnt(0)
	v_mad_u64_u32 v[2:3], s[10:11], s6, v54, 0
	v_mad_u64_u32 v[4:5], s[10:11], s4, v128, 0
	v_mov_b32_e32 v6, v3
	v_mov_b32_e32 v8, v5
	v_mad_u64_u32 v[6:7], s[6:7], s7, v54, v[6:7]
	v_mov_b32_e32 v3, v6
	v_mad_u64_u32 v[6:7], s[6:7], s5, v128, v[8:9]
	v_mov_b32_e32 v5, v6
	v_lshl_add_u64 v[0:1], v[2:3], 3, v[0:1]
	v_lshl_add_u64 v[0:1], v[4:5], 3, v[0:1]
	global_load_dwordx2 v[2:3], v[0:1], off
	v_mad_u64_u32 v[0:1], s[6:7], s4, v42, v[0:1]
	s_mul_i32 s10, s5, 0x120
	v_add_u32_e32 v1, s10, v1
	global_load_dwordx2 v[4:5], v[0:1], off
	global_load_dwordx2 v[6:7], v55, s[2:3]
	v_mad_u64_u32 v[0:1], s[6:7], s4, v42, v[0:1]
	v_add_u32_e32 v1, s10, v1
	v_mad_u64_u32 v[10:11], s[6:7], s4, v42, v[0:1]
	v_add_u32_e32 v11, s10, v11
	global_load_dwordx2 v[8:9], v55, s[2:3] offset:288
	global_load_dwordx2 v[12:13], v55, s[2:3] offset:576
	;; [unrolled: 1-line block ×3, first 2 shown]
	global_load_dwordx2 v[16:17], v[0:1], off
	v_mad_u64_u32 v[0:1], s[6:7], s4, v42, v[10:11]
	v_add_u32_e32 v1, s10, v1
	global_load_dwordx2 v[18:19], v[10:11], off
	global_load_dwordx2 v[20:21], v[0:1], off
	v_mad_u64_u32 v[0:1], s[6:7], s4, v42, v[0:1]
	v_add_u32_e32 v1, s10, v1
	global_load_dwordx2 v[10:11], v55, s[2:3] offset:1152
	global_load_dwordx2 v[22:23], v[0:1], off
	v_mad_u64_u32 v[0:1], s[6:7], s4, v42, v[0:1]
	v_add_u32_e32 v1, s10, v1
	global_load_dwordx2 v[26:27], v[0:1], off
	v_mad_u64_u32 v[0:1], s[6:7], s4, v42, v[0:1]
	v_add_u32_e32 v1, s10, v1
	global_load_dwordx2 v[24:25], v55, s[2:3] offset:1440
	global_load_dwordx2 v[28:29], v55, s[2:3] offset:1728
	global_load_dwordx2 v[30:31], v[0:1], off
	global_load_dwordx2 v[32:33], v55, s[2:3] offset:2016
	v_mad_u64_u32 v[0:1], s[6:7], s4, v42, v[0:1]
	v_add_u32_e32 v1, s10, v1
	global_load_dwordx2 v[34:35], v[0:1], off
	global_load_dwordx2 v[36:37], v55, s[2:3] offset:2304
	v_mad_u64_u32 v[0:1], s[6:7], s4, v42, v[0:1]
	v_add_u32_e32 v1, s10, v1
	;; [unrolled: 4-line block ×3, first 2 shown]
	global_load_dwordx2 v[42:43], v55, s[2:3] offset:2880
	global_load_dwordx2 v[44:45], v[0:1], off
	s_waitcnt vmcnt(19)
	v_mul_f32_e32 v0, v3, v7
	v_mul_f32_e32 v1, v2, v7
	v_fmac_f32_e32 v0, v2, v6
	v_fma_f32 v1, v3, v6, -v1
	s_waitcnt vmcnt(18)
	v_mul_f32_e32 v2, v5, v9
	v_mul_f32_e32 v3, v4, v9
	v_fmac_f32_e32 v2, v4, v8
	v_fma_f32 v3, v5, v8, -v3
	ds_write2_b64 v55, v[0:1], v[2:3] offset1:36
	s_waitcnt vmcnt(15)
	v_mul_f32_e32 v0, v17, v13
	v_mul_f32_e32 v1, v16, v13
	s_waitcnt vmcnt(14)
	v_mul_f32_e32 v2, v19, v15
	v_mul_f32_e32 v3, v18, v15
	v_fmac_f32_e32 v0, v16, v12
	v_fma_f32 v1, v17, v12, -v1
	v_fmac_f32_e32 v2, v18, v14
	v_fma_f32 v3, v19, v14, -v3
	ds_write2_b64 v55, v[0:1], v[2:3] offset0:72 offset1:108
	s_waitcnt vmcnt(12)
	v_mul_f32_e32 v0, v21, v11
	v_mul_f32_e32 v1, v20, v11
	v_fmac_f32_e32 v0, v20, v10
	s_waitcnt vmcnt(9)
	v_mul_f32_e32 v2, v23, v25
	v_mul_f32_e32 v3, v22, v25
	v_fma_f32 v1, v21, v10, -v1
	v_fmac_f32_e32 v2, v22, v24
	v_fma_f32 v3, v23, v24, -v3
	ds_write2_b64 v55, v[0:1], v[2:3] offset0:144 offset1:180
	s_waitcnt vmcnt(8)
	v_mul_f32_e32 v0, v27, v29
	v_mul_f32_e32 v1, v26, v29
	s_waitcnt vmcnt(6)
	v_mul_f32_e32 v2, v31, v33
	v_mul_f32_e32 v3, v30, v33
	v_fmac_f32_e32 v0, v26, v28
	v_fma_f32 v1, v27, v28, -v1
	v_fmac_f32_e32 v2, v30, v32
	v_fma_f32 v3, v31, v32, -v3
	ds_write2_b64 v55, v[0:1], v[2:3] offset0:216 offset1:252
	s_waitcnt vmcnt(4)
	v_mul_f32_e32 v0, v35, v37
	v_mul_f32_e32 v1, v34, v37
	s_waitcnt vmcnt(2)
	v_mul_f32_e32 v2, v39, v41
	v_mul_f32_e32 v3, v38, v41
	v_fmac_f32_e32 v0, v34, v36
	v_fma_f32 v1, v35, v36, -v1
	v_fmac_f32_e32 v2, v38, v40
	v_fma_f32 v3, v39, v40, -v3
	v_add_u32_e32 v4, 0x800, v55
	ds_write2_b64 v4, v[0:1], v[2:3] offset0:32 offset1:68
	s_waitcnt vmcnt(0)
	v_mul_f32_e32 v0, v45, v43
	v_mul_f32_e32 v1, v44, v43
	v_fmac_f32_e32 v0, v44, v42
	v_fma_f32 v1, v45, v42, -v1
	ds_write_b64 v55, v[0:1] offset:2880
.LBB0_3:
	s_or_b64 exec, exec, s[12:13]
	s_load_dwordx2 s[4:5], s[0:1], 0x20
	s_load_dwordx2 s[10:11], s[0:1], 0x8
	v_mov_b64_e32 v[0:1], 0
	s_waitcnt lgkmcnt(0)
	; wave barrier
	s_waitcnt lgkmcnt(0)
                                        ; implicit-def: $vgpr4
                                        ; implicit-def: $vgpr10
                                        ; implicit-def: $vgpr16
                                        ; implicit-def: $vgpr14
                                        ; implicit-def: $vgpr36
	s_and_saveexec_b64 s[0:1], vcc
	s_cbranch_execz .LBB0_5
; %bb.4:
	ds_read2_b64 v[0:3], v55 offset1:36
	ds_read2_b64 v[12:15], v55 offset0:72 offset1:108
	ds_read2_b64 v[8:11], v55 offset0:144 offset1:180
	;; [unrolled: 1-line block ×3, first 2 shown]
	v_add_u32_e32 v16, 0x800, v55
	ds_read2_b64 v[16:19], v16 offset0:32 offset1:68
	ds_read_b64 v[36:37], v55 offset:2880
.LBB0_5:
	s_or_b64 exec, exec, s[0:1]
	s_waitcnt lgkmcnt(0)
	v_pk_add_f32 v[34:35], v[2:3], v[36:37] neg_lo:[0,1] neg_hi:[0,1]
	s_mov_b32 s14, 0xbf68dda4
	v_pk_add_f32 v[26:27], v[36:37], v[2:3]
	v_pk_add_f32 v[28:29], v[12:13], v[18:19] neg_lo:[0,1] neg_hi:[0,1]
	s_mov_b32 s0, 0x3ed4b147
	v_pk_mul_f32 v[30:31], v[34:35], s[14:15] op_sel_hi:[1,0]
	s_mov_b32 s12, 0xbf4178ce
	v_pk_add_f32 v[24:25], v[18:19], v[12:13]
	v_pk_fma_f32 v[46:47], v[26:27], s[0:1], v[30:31] op_sel:[0,0,1] op_sel_hi:[1,0,0]
	v_pk_fma_f32 v[48:49], v[26:27], s[0:1], v[30:31] op_sel:[0,0,1] op_sel_hi:[1,0,0] neg_lo:[0,0,1] neg_hi:[0,0,1]
	s_mov_b32 s6, 0xbf27a4f4
	v_pk_mul_f32 v[32:33], v[28:29], s[12:13] op_sel_hi:[1,0]
	v_mov_b32_e32 v30, v46
	v_mov_b32_e32 v31, v49
	v_pk_fma_f32 v[50:51], v[24:25], s[6:7], v[32:33] op_sel:[0,0,1] op_sel_hi:[1,0,0]
	v_pk_fma_f32 v[52:53], v[24:25], s[6:7], v[32:33] op_sel:[0,0,1] op_sel_hi:[1,0,0] neg_lo:[0,0,1] neg_hi:[0,0,1]
	v_pk_add_f32 v[22:23], v[14:15], v[16:17] neg_lo:[0,1] neg_hi:[0,1]
	v_pk_add_f32 v[30:31], v[30:31], v[0:1]
	v_mov_b32_e32 v32, v50
	v_mov_b32_e32 v33, v53
	s_mov_b32 s30, 0x3e903f40
	v_pk_add_f32 v[20:21], v[16:17], v[14:15]
	v_pk_add_f32 v[30:31], v[32:33], v[30:31]
	s_mov_b32 s16, 0xbf75a155
	v_pk_mul_f32 v[32:33], v[22:23], s[30:31] op_sel_hi:[1,0]
	s_mov_b32 s24, 0xbf0a6770
	v_pk_fma_f32 v[56:57], v[20:21], s[16:17], v[32:33] op_sel:[0,0,1] op_sel_hi:[1,0,0]
	v_pk_fma_f32 v[58:59], v[20:21], s[16:17], v[32:33] op_sel:[0,0,1] op_sel_hi:[1,0,0] neg_lo:[0,0,1] neg_hi:[0,0,1]
	v_mov_b32_e32 v32, v56
	v_mov_b32_e32 v33, v59
	v_pk_add_f32 v[30:31], v[32:33], v[30:31]
	s_mov_b32 s18, 0x3f575c64
	v_pk_mul_f32 v[32:33], v[34:35], s[24:25] op_sel_hi:[1,0]
	v_pk_mul_f32 v[38:39], v[28:29], s[14:15] op_sel_hi:[1,0]
	v_pk_fma_f32 v[60:61], v[26:27], s[18:19], v[32:33] op_sel:[0,0,1] op_sel_hi:[1,0,0]
	v_pk_fma_f32 v[62:63], v[26:27], s[18:19], v[32:33] op_sel:[0,0,1] op_sel_hi:[1,0,0] neg_lo:[0,0,1] neg_hi:[0,0,1]
	v_mov_b32_e32 v32, v60
	v_mov_b32_e32 v33, v63
	v_pk_fma_f32 v[64:65], v[24:25], s[0:1], v[38:39] op_sel:[0,0,1] op_sel_hi:[1,0,0]
	v_pk_fma_f32 v[66:67], v[24:25], s[0:1], v[38:39] op_sel:[0,0,1] op_sel_hi:[1,0,0] neg_lo:[0,0,1] neg_hi:[0,0,1]
	v_mov_b32_e32 v38, v64
	v_mov_b32_e32 v39, v67
	v_pk_add_f32 v[32:33], v[32:33], v[0:1]
	s_mov_b32 s22, 0xbf7d64f0
	v_pk_add_f32 v[32:33], v[38:39], v[32:33]
	s_mov_b32 s20, 0xbe11bafb
	v_pk_mul_f32 v[38:39], v[22:23], s[22:23] op_sel_hi:[1,0]
	v_pk_add_f32 v[40:41], v[8:9], v[6:7] neg_lo:[0,1] neg_hi:[0,1]
	v_pk_fma_f32 v[72:73], v[20:21], s[20:21], v[38:39] op_sel:[0,0,1] op_sel_hi:[1,0,0]
	v_pk_fma_f32 v[74:75], v[20:21], s[20:21], v[38:39] op_sel:[0,0,1] op_sel_hi:[1,0,0] neg_lo:[0,0,1] neg_hi:[0,0,1]
	v_mov_b32_e32 v38, v72
	v_mov_b32_e32 v39, v75
	v_pk_add_f32 v[32:33], v[38:39], v[32:33]
	v_pk_add_f32 v[38:39], v[6:7], v[8:9]
	v_pk_mul_f32 v[42:43], v[40:41], s[12:13] op_sel_hi:[1,0]
	s_mov_b32 s34, 0x3f7d64f0
	v_pk_fma_f32 v[76:77], v[38:39], s[6:7], v[42:43] op_sel:[0,0,1] op_sel_hi:[1,0,0]
	v_pk_fma_f32 v[82:83], v[38:39], s[6:7], v[42:43] op_sel:[0,0,1] op_sel_hi:[1,0,0] neg_lo:[0,0,1] neg_hi:[0,0,1]
	v_mov_b32_e32 v42, v76
	v_mov_b32_e32 v43, v83
	v_pk_add_f32 v[32:33], v[42:43], v[32:33]
	v_pk_mul_f32 v[42:43], v[40:41], s[34:35] op_sel_hi:[1,0]
	s_mov_b32 s26, 0xbe903f40
	v_pk_fma_f32 v[68:69], v[38:39], s[20:21], v[42:43] op_sel:[0,0,1] op_sel_hi:[1,0,0]
	v_pk_fma_f32 v[70:71], v[38:39], s[20:21], v[42:43] op_sel:[0,0,1] op_sel_hi:[1,0,0] neg_lo:[0,0,1] neg_hi:[0,0,1]
	v_mov_b32_e32 v42, v68
	v_mov_b32_e32 v43, v71
	v_pk_add_f32 v[44:45], v[10:11], v[4:5] neg_lo:[0,1] neg_hi:[0,1]
	v_pk_add_f32 v[30:31], v[42:43], v[30:31]
	v_pk_add_f32 v[42:43], v[4:5], v[10:11]
	v_pk_mul_f32 v[78:79], v[44:45], s[26:27] op_sel_hi:[1,0]
	s_mov_b32 s28, 0x3f0a6770
	v_pk_fma_f32 v[84:85], v[42:43], s[16:17], v[78:79] op_sel:[0,0,1] op_sel_hi:[1,0,0]
	v_pk_fma_f32 v[86:87], v[42:43], s[16:17], v[78:79] op_sel:[0,0,1] op_sel_hi:[1,0,0] neg_lo:[0,0,1] neg_hi:[0,0,1]
	v_mov_b32_e32 v78, v84
	v_mov_b32_e32 v79, v87
	v_pk_mul_f32 v[80:81], v[44:45], s[28:29] op_sel_hi:[1,0]
	v_pk_add_f32 v[32:33], v[78:79], v[32:33]
	v_pk_fma_f32 v[78:79], v[42:43], s[18:19], v[80:81] op_sel:[0,0,1] op_sel_hi:[1,0,0]
	v_pk_fma_f32 v[80:81], v[42:43], s[18:19], v[80:81] op_sel:[0,0,1] op_sel_hi:[1,0,0] neg_lo:[0,0,1] neg_hi:[0,0,1]
	v_mov_b32_e32 v88, v78
	v_mov_b32_e32 v89, v81
	v_pk_add_f32 v[30:31], v[88:89], v[30:31]
	v_mul_lo_u16_e32 v129, 11, v128
	s_waitcnt lgkmcnt(0)
	; wave barrier
	s_and_saveexec_b64 s[14:15], vcc
	s_cbranch_execz .LBB0_7
; %bb.6:
	v_pk_add_f32 v[2:3], v[2:3], v[0:1]
	v_mov_b32_e32 v63, v61
	v_pk_add_f32 v[2:3], v[12:13], v[2:3]
	v_mov_b32_e32 v67, v65
	;; [unrolled: 2-line block ×5, first 2 shown]
	v_pk_add_f32 v[2:3], v[4:5], v[2:3]
	v_pk_add_f32 v[4:5], v[62:63], v[0:1]
	v_pk_add_f32 v[2:3], v[6:7], v[2:3]
	v_pk_add_f32 v[4:5], v[66:67], v[4:5]
	v_pk_add_f32 v[2:3], v[16:17], v[2:3]
	v_pk_add_f32 v[4:5], v[74:75], v[4:5]
	v_pk_add_f32 v[2:3], v[18:19], v[2:3]
	v_pk_add_f32 v[4:5], v[82:83], v[4:5]
	v_pk_add_f32 v[2:3], v[36:37], v[2:3]
	v_lshlrev_b32_e32 v76, 3, v129
	v_pk_add_f32 v[4:5], v[86:87], v[4:5]
	ds_write2_b64 v76, v[2:3], v[4:5] offset1:1
	v_pk_mul_f32 v[4:5], v[34:35], s[22:23] op_sel_hi:[1,0]
	v_pk_mul_f32 v[6:7], v[28:29], s[30:31] op_sel_hi:[1,0]
	v_pk_fma_f32 v[14:15], v[26:27], s[20:21], v[4:5] op_sel:[0,0,1] op_sel_hi:[1,0,0] neg_lo:[0,0,1] neg_hi:[0,0,1]
	v_pk_fma_f32 v[4:5], v[26:27], s[20:21], v[4:5] op_sel:[0,0,1] op_sel_hi:[1,0,0]
	s_mov_b32 s30, 0x3f68dda4
	v_mov_b32_e32 v16, v14
	v_mov_b32_e32 v17, v5
	v_pk_fma_f32 v[18:19], v[24:25], s[16:17], v[6:7] op_sel:[0,0,1] op_sel_hi:[1,0,0] neg_lo:[0,0,1] neg_hi:[0,0,1]
	v_pk_fma_f32 v[6:7], v[24:25], s[16:17], v[6:7] op_sel:[0,0,1] op_sel_hi:[1,0,0]
	v_pk_mul_f32 v[8:9], v[22:23], s[30:31] op_sel_hi:[1,0]
	v_pk_add_f32 v[16:17], v[16:17], v[0:1]
	v_mov_b32_e32 v36, v18
	v_mov_b32_e32 v37, v7
	v_pk_add_f32 v[16:17], v[36:37], v[16:17]
	v_pk_fma_f32 v[36:37], v[20:21], s[0:1], v[8:9] op_sel:[0,0,1] op_sel_hi:[1,0,0] neg_lo:[0,0,1] neg_hi:[0,0,1]
	v_pk_fma_f32 v[8:9], v[20:21], s[0:1], v[8:9] op_sel:[0,0,1] op_sel_hi:[1,0,0]
	v_mov_b32_e32 v49, v47
	v_pk_mul_f32 v[10:11], v[40:41], s[24:25] op_sel_hi:[1,0]
	v_mov_b32_e32 v46, v36
	v_mov_b32_e32 v47, v9
	v_pk_add_f32 v[2:3], v[48:49], v[0:1]
	v_mov_b32_e32 v53, v51
	v_pk_add_f32 v[16:17], v[46:47], v[16:17]
	v_pk_fma_f32 v[46:47], v[38:39], s[18:19], v[10:11] op_sel:[0,0,1] op_sel_hi:[1,0,0] neg_lo:[0,0,1] neg_hi:[0,0,1]
	v_pk_fma_f32 v[10:11], v[38:39], s[18:19], v[10:11] op_sel:[0,0,1] op_sel_hi:[1,0,0]
	v_pk_add_f32 v[2:3], v[52:53], v[2:3]
	v_mov_b32_e32 v59, v57
	v_pk_mul_f32 v[12:13], v[44:45], s[12:13] op_sel_hi:[1,0]
	v_mov_b32_e32 v48, v46
	v_mov_b32_e32 v49, v11
	v_pk_add_f32 v[2:3], v[58:59], v[2:3]
	v_mov_b32_e32 v71, v69
	v_pk_add_f32 v[16:17], v[48:49], v[16:17]
	v_pk_fma_f32 v[48:49], v[42:43], s[6:7], v[12:13] op_sel:[0,0,1] op_sel_hi:[1,0,0] neg_lo:[0,0,1] neg_hi:[0,0,1]
	v_pk_fma_f32 v[12:13], v[42:43], s[6:7], v[12:13] op_sel:[0,0,1] op_sel_hi:[1,0,0]
	v_pk_add_f32 v[2:3], v[70:71], v[2:3]
	v_mov_b32_e32 v81, v79
	v_mov_b32_e32 v50, v48
	;; [unrolled: 1-line block ×3, first 2 shown]
	v_pk_add_f32 v[2:3], v[80:81], v[2:3]
	v_pk_add_f32 v[16:17], v[50:51], v[16:17]
	ds_write2_b64 v76, v[2:3], v[16:17] offset0:2 offset1:3
	v_pk_mul_f32 v[2:3], v[34:35], s[12:13] op_sel_hi:[1,0]
	v_pk_mul_f32 v[52:53], v[28:29], s[34:35] op_sel_hi:[1,0]
	v_pk_fma_f32 v[16:17], v[26:27], s[6:7], v[2:3] op_sel:[0,0,1] op_sel_hi:[1,0,0] neg_lo:[0,0,1] neg_hi:[0,0,1]
	v_pk_fma_f32 v[2:3], v[26:27], s[6:7], v[2:3] op_sel:[0,0,1] op_sel_hi:[1,0,0]
	v_mov_b32_e32 v50, v16
	v_mov_b32_e32 v51, v3
	v_pk_fma_f32 v[56:57], v[24:25], s[20:21], v[52:53] op_sel:[0,0,1] op_sel_hi:[1,0,0] neg_lo:[0,0,1] neg_hi:[0,0,1]
	v_pk_fma_f32 v[52:53], v[24:25], s[20:21], v[52:53] op_sel:[0,0,1] op_sel_hi:[1,0,0]
	v_pk_add_f32 v[50:51], v[50:51], v[0:1]
	v_mov_b32_e32 v58, v56
	v_mov_b32_e32 v59, v53
	v_pk_add_f32 v[50:51], v[58:59], v[50:51]
	v_pk_mul_f32 v[58:59], v[22:23], s[24:25] op_sel_hi:[1,0]
	v_pk_mul_f32 v[34:35], v[34:35], s[26:27] op_sel_hi:[1,0]
	v_pk_fma_f32 v[60:61], v[20:21], s[18:19], v[58:59] op_sel:[0,0,1] op_sel_hi:[1,0,0] neg_lo:[0,0,1] neg_hi:[0,0,1]
	v_pk_fma_f32 v[58:59], v[20:21], s[18:19], v[58:59] op_sel:[0,0,1] op_sel_hi:[1,0,0]
	v_mov_b32_e32 v62, v60
	v_mov_b32_e32 v63, v59
	v_pk_add_f32 v[50:51], v[62:63], v[50:51]
	v_pk_mul_f32 v[62:63], v[40:41], s[26:27] op_sel_hi:[1,0]
	v_pk_mul_f32 v[28:29], v[28:29], s[28:29] op_sel_hi:[1,0]
	v_pk_fma_f32 v[64:65], v[38:39], s[16:17], v[62:63] op_sel:[0,0,1] op_sel_hi:[1,0,0] neg_lo:[0,0,1] neg_hi:[0,0,1]
	v_pk_fma_f32 v[62:63], v[38:39], s[16:17], v[62:63] op_sel:[0,0,1] op_sel_hi:[1,0,0]
	;; [unrolled: 7-line block ×3, first 2 shown]
	v_mov_b32_e32 v70, v68
	v_mov_b32_e32 v71, v67
	v_pk_add_f32 v[50:51], v[70:71], v[50:51]
	v_pk_fma_f32 v[70:71], v[26:27], s[16:17], v[34:35] op_sel:[0,0,1] op_sel_hi:[1,0,0] neg_lo:[0,0,1] neg_hi:[0,0,1]
	v_pk_fma_f32 v[26:27], v[26:27], s[16:17], v[34:35] op_sel:[0,0,1] op_sel_hi:[1,0,0]
	v_pk_fma_f32 v[34:35], v[24:25], s[18:19], v[28:29] op_sel:[0,0,1] op_sel_hi:[1,0,0] neg_lo:[0,0,1] neg_hi:[0,0,1]
	v_pk_fma_f32 v[24:25], v[24:25], s[18:19], v[28:29] op_sel:[0,0,1] op_sel_hi:[1,0,0]
	v_mov_b32_e32 v28, v70
	v_mov_b32_e32 v29, v27
	v_pk_add_f32 v[28:29], v[28:29], v[0:1]
	v_mov_b32_e32 v72, v34
	v_mov_b32_e32 v73, v25
	v_pk_add_f32 v[28:29], v[72:73], v[28:29]
	v_pk_fma_f32 v[72:73], v[20:21], s[6:7], v[22:23] op_sel:[0,0,1] op_sel_hi:[1,0,0] neg_lo:[0,0,1] neg_hi:[0,0,1]
	v_pk_fma_f32 v[20:21], v[20:21], s[6:7], v[22:23] op_sel:[0,0,1] op_sel_hi:[1,0,0]
	v_mov_b32_e32 v22, v72
	v_mov_b32_e32 v23, v21
	v_pk_add_f32 v[22:23], v[22:23], v[28:29]
	v_pk_mul_f32 v[28:29], v[40:41], s[30:31] op_sel_hi:[1,0]
	v_mov_b32_e32 v27, v71
	v_pk_fma_f32 v[40:41], v[38:39], s[0:1], v[28:29] op_sel:[0,0,1] op_sel_hi:[1,0,0] neg_lo:[0,0,1] neg_hi:[0,0,1]
	v_pk_fma_f32 v[28:29], v[38:39], s[0:1], v[28:29] op_sel:[0,0,1] op_sel_hi:[1,0,0]
	v_mov_b32_e32 v38, v40
	v_mov_b32_e32 v39, v29
	v_pk_add_f32 v[22:23], v[38:39], v[22:23]
	v_pk_mul_f32 v[38:39], v[44:45], s[22:23] op_sel_hi:[1,0]
	v_mov_b32_e32 v3, v17
	v_pk_fma_f32 v[44:45], v[42:43], s[20:21], v[38:39] op_sel:[0,0,1] op_sel_hi:[1,0,0] neg_lo:[0,0,1] neg_hi:[0,0,1]
	v_pk_fma_f32 v[38:39], v[42:43], s[20:21], v[38:39] op_sel:[0,0,1] op_sel_hi:[1,0,0]
	v_mov_b32_e32 v42, v44
	v_mov_b32_e32 v43, v39
	v_pk_add_f32 v[22:23], v[42:43], v[22:23]
	v_mov_b32_e32 v5, v15
	ds_write2_b64 v76, v[50:51], v[22:23] offset0:4 offset1:5
	v_pk_add_f32 v[22:23], v[26:27], v[0:1]
	v_mov_b32_e32 v25, v35
	v_pk_add_f32 v[2:3], v[2:3], v[0:1]
	v_mov_b32_e32 v53, v57
	;; [unrolled: 2-line block ×12, first 2 shown]
	v_pk_add_f32 v[20:21], v[38:39], v[20:21]
	v_pk_add_f32 v[2:3], v[66:67], v[2:3]
	;; [unrolled: 1-line block ×3, first 2 shown]
	ds_write2_b64 v76, v[20:21], v[2:3] offset0:6 offset1:7
	ds_write2_b64 v76, v[0:1], v[30:31] offset0:8 offset1:9
	ds_write_b64 v76, v[32:33] offset:80
.LBB0_7:
	s_or_b64 exec, exec, s[14:15]
	s_movk_i32 s0, 0x75
	v_mul_lo_u16_sdwa v0, v128, s0 dst_sel:DWORD dst_unused:UNUSED_PAD src0_sel:BYTE_0 src1_sel:DWORD
	v_sub_u16_sdwa v1, v128, v0 dst_sel:DWORD dst_unused:UNUSED_PAD src0_sel:DWORD src1_sel:BYTE_1
	v_lshrrev_b16_e32 v1, 1, v1
	v_and_b32_e32 v1, 0x7f, v1
	v_add_u16_sdwa v0, v1, v0 dst_sel:DWORD dst_unused:UNUSED_PAD src0_sel:DWORD src1_sel:BYTE_1
	v_lshrrev_b16_e32 v63, 3, v0
	v_mul_lo_u16_e32 v0, 11, v63
	v_sub_u16_e32 v0, v128, v0
	v_and_b32_e32 v65, 0xff, v0
	v_lshlrev_b32_e32 v16, 6, v65
	s_load_dwordx4 s[4:7], s[4:5], 0x0
	s_waitcnt lgkmcnt(0)
	; wave barrier
	s_waitcnt lgkmcnt(0)
	global_load_dwordx4 v[12:15], v16, s[10:11]
	global_load_dwordx4 v[0:3], v16, s[10:11] offset:48
	global_load_dwordx4 v[8:11], v16, s[10:11] offset:16
	;; [unrolled: 1-line block ×3, first 2 shown]
	ds_read2_b64 v[16:19], v55 offset0:88 offset1:132
	v_add_u32_e32 v62, 0x800, v55
	ds_read2_b64 v[20:23], v55 offset1:44
	ds_read_b64 v[28:29], v55 offset:2816
	ds_read2_b64 v[24:27], v55 offset0:176 offset1:220
	ds_read2_b64 v[34:37], v62 offset0:8 offset1:52
	s_mov_b32 s18, 0x3f248dbb
	s_mov_b32 s19, 0x3f7c1c5c
	;; [unrolled: 1-line block ×8, first 2 shown]
	s_waitcnt lgkmcnt(0)
	; wave barrier
	s_waitcnt lgkmcnt(0)
	s_mov_b32 s22, s19
	s_waitcnt vmcnt(3)
	v_mov_b32_e32 v38, v13
	v_pk_mul_f32 v[40:41], v[22:23], v[12:13] op_sel:[1,0] op_sel_hi:[0,1]
	v_mov_b32_e32 v42, v15
	v_pk_mul_f32 v[44:45], v[16:17], v[14:15] op_sel:[1,0] op_sel_hi:[0,1]
	s_waitcnt vmcnt(2)
	v_mov_b32_e32 v46, v1
	v_mov_b32_e32 v50, v3
	v_pk_mul_f32 v[52:53], v[28:29], v[2:3] op_sel:[1,0] op_sel_hi:[0,1]
	v_pk_mul_f32 v[48:49], v[36:37], v[0:1] op_sel:[1,0] op_sel_hi:[0,1]
	s_waitcnt vmcnt(1)
	v_pk_mul_f32 v[56:57], v[18:19], v[8:9] op_sel:[0,1]
	v_mov_b32_e32 v58, v11
	s_waitcnt vmcnt(0)
	v_pk_mul_f32 v[60:61], v[26:27], v[4:5] op_sel:[0,1]
	v_mov_b32_e32 v64, v7
	v_pk_mul_f32 v[38:39], v[22:23], v[38:39] op_sel:[1,0] op_sel_hi:[0,1]
	v_mov_b32_e32 v41, v40
	v_pk_mul_f32 v[42:43], v[16:17], v[42:43] op_sel:[1,0] op_sel_hi:[0,1]
	;; [unrolled: 2-line block ×3, first 2 shown]
	v_pk_mul_f32 v[50:51], v[28:29], v[50:51] op_sel:[1,0] op_sel_hi:[0,1]
	v_mov_b32_e32 v53, v52
	v_mov_b32_e32 v49, v48
	v_pk_fma_f32 v[66:67], v[18:19], v[8:9], v[56:57] op_sel:[0,0,1] op_sel_hi:[1,0,0]
	v_pk_fma_f32 v[18:19], v[18:19], v[8:9], v[56:57] op_sel:[0,0,1] op_sel_hi:[1,0,0] neg_lo:[0,0,1] neg_hi:[0,0,1]
	v_pk_mul_f32 v[56:57], v[24:25], v[58:59] op_sel_hi:[1,0]
	v_pk_fma_f32 v[58:59], v[26:27], v[4:5], v[60:61] op_sel:[0,0,1] op_sel_hi:[1,0,0]
	v_pk_fma_f32 v[26:27], v[26:27], v[4:5], v[60:61] op_sel:[0,0,1] op_sel_hi:[1,0,0] neg_lo:[0,0,1] neg_hi:[0,0,1]
	v_pk_mul_f32 v[60:61], v[34:35], v[64:65] op_sel_hi:[1,0]
	v_pk_fma_f32 v[38:39], v[22:23], v[12:13], v[38:39] neg_lo:[0,0,1] neg_hi:[0,0,1]
	v_pk_fma_f32 v[22:23], v[22:23], v[12:13], v[40:41] op_sel:[1,0,0] op_sel_hi:[0,1,1]
	v_pk_fma_f32 v[40:41], v[16:17], v[14:15], v[42:43] neg_lo:[0,0,1] neg_hi:[0,0,1]
	v_pk_fma_f32 v[16:17], v[16:17], v[14:15], v[44:45] op_sel:[1,0,0] op_sel_hi:[0,1,1]
	v_pk_fma_f32 v[42:43], v[36:37], v[0:1], v[46:47] neg_lo:[0,0,1] neg_hi:[0,0,1]
	v_pk_fma_f32 v[44:45], v[28:29], v[2:3], v[50:51] neg_lo:[0,0,1] neg_hi:[0,0,1]
	v_pk_fma_f32 v[28:29], v[28:29], v[2:3], v[52:53] op_sel:[1,0,0] op_sel_hi:[0,1,1]
	v_pk_fma_f32 v[36:37], v[36:37], v[0:1], v[48:49] op_sel:[1,0,0] op_sel_hi:[0,1,1]
	;; [unrolled: 1-line block ×3, first 2 shown]
	v_pk_fma_f32 v[34:35], v[34:35], v[6:7], v[60:61] op_sel:[0,0,1] op_sel_hi:[1,0,0] neg_lo:[0,0,1] neg_hi:[0,0,1]
	v_mov_b32_e32 v39, v23
	v_mov_b32_e32 v45, v29
	;; [unrolled: 1-line block ×14, first 2 shown]
	v_pk_add_f32 v[38:39], v[38:39], v[44:45]
	v_pk_add_f32 v[22:23], v[22:23], v[28:29] neg_lo:[0,1] neg_hi:[0,1]
	v_pk_fma_f32 v[46:47], v[24:25], v[10:11], v[56:57] op_sel:[0,0,1] op_sel_hi:[1,0,0]
	v_pk_fma_f32 v[24:25], v[24:25], v[10:11], v[56:57] op_sel:[0,0,1] op_sel_hi:[1,0,0] neg_lo:[0,0,1] neg_hi:[0,0,1]
	v_pk_add_f32 v[40:41], v[40:41], v[42:43]
	v_pk_add_f32 v[42:43], v[18:19], v[34:35]
	v_pk_add_f32 v[16:17], v[16:17], v[36:37] neg_lo:[0,1] neg_hi:[0,1]
	v_pk_add_f32 v[18:19], v[18:19], v[34:35] neg_lo:[0,1] neg_hi:[0,1]
	v_pk_mul_f32 v[28:29], v[22:23], s[18:19]
	v_pk_fma_f32 v[34:35], v[38:39], s[14:15], v[20:21] op_sel_hi:[1,0,1]
	v_mov_b32_e32 v27, v59
	v_mov_b32_e32 v25, v47
	v_pk_mul_f32 v[18:19], v[18:19], s[0:1] op_sel_hi:[1,0]
	v_pk_fma_f32 v[28:29], v[16:17], s[20:21], v[28:29]
	v_pk_fma_f32 v[34:35], v[40:41], s[16:17], v[34:35] op_sel_hi:[1,0,1]
	v_pk_add_f32 v[36:37], v[24:25], v[26:27] neg_lo:[0,1] neg_hi:[0,1]
	v_pk_add_f32 v[28:29], v[18:19], v[28:29] op_sel:[1,0] op_sel_hi:[0,1]
	v_pk_fma_f32 v[34:35], v[42:43], 0.5, v[34:35] op_sel_hi:[1,0,1] neg_lo:[1,0,0] neg_hi:[1,0,0]
	v_pk_add_f32 v[44:45], v[24:25], v[26:27]
	s_mov_b32 s18, 0x3f708fb2
	v_pk_fma_f32 v[28:29], v[36:37], s[12:13], v[28:29] op_sel:[1,0,0] op_sel_hi:[0,0,1]
	v_pk_fma_f32 v[34:35], v[44:45], s[18:19], v[34:35] op_sel_hi:[1,0,1] neg_lo:[1,0,0] neg_hi:[1,0,0]
	s_mov_b32 s20, 0xbf248dbb
	v_pk_add_f32 v[46:47], v[34:35], v[28:29] neg_lo:[0,1] neg_hi:[0,1]
	v_pk_add_f32 v[48:49], v[34:35], v[28:29]
	v_pk_add_f32 v[52:53], v[42:43], v[20:21]
	v_mov_b32_e32 v49, v47
	v_pk_add_f32 v[46:47], v[40:41], v[38:39]
	v_pk_fma_f32 v[34:35], v[28:29], 2.0, v[48:49] op_sel_hi:[1,0,1]
	v_pk_add_f32 v[50:51], v[42:43], v[46:47]
	v_pk_fma_f32 v[28:29], v[28:29], 2.0, v[48:49] op_sel_hi:[1,0,1] neg_lo:[1,0,0] neg_hi:[1,0,0]
	v_pk_add_f32 v[24:25], v[24:25], v[50:51]
	v_mul_u32_u24_e32 v29, 0x63, v63
	v_pk_add_f32 v[24:25], v[26:27], v[24:25]
	v_add_lshl_u32 v130, v29, v65, 3
	v_pk_add_f32 v[24:25], v[24:25], v[20:21]
	ds_write2_b64 v130, v[24:25], v[48:49] offset1:11
	v_pk_mul_f32 v[24:25], v[36:37], s[20:21] op_sel:[1,0] op_sel_hi:[0,0]
	v_mov_b32_e32 v26, v22
	v_mov_b32_e32 v27, v17
	v_pk_fma_f32 v[24:25], v[26:27], s[22:23], v[24:25] op_sel_hi:[1,0,1]
	v_mov_b32_e32 v17, v23
	v_pk_add_f32 v[24:25], v[24:25], v[18:19] op_sel:[0,1] op_sel_hi:[1,0] neg_lo:[0,1] neg_hi:[0,1]
	v_pk_add_f32 v[46:47], v[44:45], v[46:47]
	v_pk_fma_f32 v[22:23], v[16:17], s[12:13], v[24:25] op_sel_hi:[1,0,1]
	v_pk_fma_f32 v[24:25], v[44:45], s[14:15], v[20:21] op_sel_hi:[1,0,1]
	v_pk_fma_f32 v[46:47], v[46:47], 0.5, v[52:53] op_sel_hi:[1,0,1] neg_lo:[1,0,0] neg_hi:[1,0,0]
	v_pk_fma_f32 v[24:25], v[38:39], s[16:17], v[24:25] op_sel_hi:[1,0,1]
	v_mov_b32_e32 v29, v35
	v_pk_fma_f32 v[24:25], v[42:43], 0.5, v[24:25] op_sel_hi:[1,0,1] neg_lo:[1,0,0] neg_hi:[1,0,0]
	s_nop 0
	v_pk_fma_f32 v[24:25], v[40:41], s[18:19], v[24:25] op_sel_hi:[1,0,1] neg_lo:[1,0,0] neg_hi:[1,0,0]
	s_nop 0
	v_pk_add_f32 v[48:49], v[24:25], v[22:23]
	v_pk_add_f32 v[24:25], v[24:25], v[22:23] neg_lo:[0,1] neg_hi:[0,1]
	s_nop 0
	v_fma_f32 v24, -2.0, v22, v48
	v_mov_b32_e32 v49, v25
	v_fmac_f32_e32 v25, 2.0, v23
	v_pk_add_f32 v[22:23], v[36:37], v[26:27] op_sel:[1,0] op_sel_hi:[0,1]
	v_pk_mul_f32 v[36:37], v[36:37], s[22:23] op_sel:[1,0] op_sel_hi:[0,0]
	v_pk_add_f32 v[22:23], v[22:23], v[16:17] neg_lo:[0,1] neg_hi:[0,1]
	v_pk_fma_f32 v[16:17], v[16:17], s[20:21], v[36:37] op_sel_hi:[1,0,1] neg_lo:[0,0,1] neg_hi:[0,0,1]
	v_pk_mul_f32 v[50:51], v[22:23], s[0:1] op_sel_hi:[1,0]
	v_pk_add_f32 v[16:17], v[18:19], v[16:17] op_sel:[1,0] op_sel_hi:[0,1]
	v_pk_fma_f32 v[18:19], v[40:41], s[14:15], v[20:21] op_sel_hi:[1,0,1]
	v_pk_fma_f32 v[16:17], v[26:27], s[12:13], v[16:17] op_sel_hi:[1,0,1]
	;; [unrolled: 1-line block ×4, first 2 shown]
	v_pk_fma_f32 v[18:19], v[42:43], 0.5, v[18:19] op_sel_hi:[1,0,1] neg_lo:[1,0,0] neg_hi:[1,0,0]
	v_pk_fma_f32 v[22:23], v[22:23], s[0:1], v[46:47] op_sel_hi:[1,0,1] neg_lo:[1,0,0] neg_hi:[1,0,0]
	v_pk_fma_f32 v[18:19], v[38:39], s[18:19], v[18:19] op_sel_hi:[1,0,1] neg_lo:[1,0,0] neg_hi:[1,0,0]
	v_mov_b32_e32 v53, v23
	v_pk_add_f32 v[20:21], v[18:19], v[16:17]
	v_pk_add_f32 v[18:19], v[18:19], v[16:17] neg_lo:[0,1] neg_hi:[0,1]
	v_fma_f32 v22, -2.0, v50, v52
	v_fma_f32 v18, -2.0, v16, v20
	v_mov_b32_e32 v21, v19
	v_fmac_f32_e32 v19, 2.0, v17
	v_fmac_f32_e32 v23, 2.0, v51
	ds_write2_b64 v130, v[48:49], v[52:53] offset0:22 offset1:33
	ds_write2_b64 v130, v[20:21], v[18:19] offset0:44 offset1:55
	;; [unrolled: 1-line block ×3, first 2 shown]
	ds_write_b64 v130, v[28:29] offset:704
	s_waitcnt lgkmcnt(0)
	; wave barrier
	s_waitcnt lgkmcnt(0)
	ds_read2_b64 v[36:39], v55 offset1:44
	ds_read2_b64 v[48:51], v55 offset0:99 offset1:143
	ds_read2_b64 v[40:43], v55 offset0:198 offset1:242
	;; [unrolled: 1-line block ×3, first 2 shown]
	v_cmp_gt_u16_e64 s[0:1], 11, v128
                                        ; implicit-def: $vgpr52
	s_and_saveexec_b64 s[12:13], s[0:1]
	s_cbranch_execz .LBB0_9
; %bb.8:
	ds_read2_b64 v[32:35], v62 offset0:30 offset1:129
	ds_read2_b64 v[28:31], v55 offset0:88 offset1:187
	s_waitcnt lgkmcnt(1)
	v_mov_b32_e32 v52, v35
	s_waitcnt lgkmcnt(0)
	v_mov_b32_e32 v35, v29
.LBB0_9:
	s_or_b64 exec, exec, s[12:13]
	v_mad_u64_u32 v[16:17], s[12:13], v128, 24, s[10:11]
	global_load_dwordx4 v[20:23], v[16:17], off offset:704
	global_load_dwordx2 v[58:59], v[16:17], off offset:720
	global_load_dwordx4 v[24:27], v[16:17], off offset:1760
	global_load_dwordx2 v[60:61], v[16:17], off offset:1776
	v_add_u32_e32 v16, 0x58, v128
	v_add_u32_e32 v17, -11, v128
	v_cndmask_b32_e64 v16, v17, v16, s[0:1]
	v_mul_hi_i32_i24_e32 v17, 24, v16
	v_mul_i32_i24_e32 v16, 24, v16
	v_lshl_add_u64 v[64:65], s[10:11], 0, v[16:17]
	global_load_dwordx4 v[16:19], v[64:65], off offset:704
	global_load_dwordx2 v[56:57], v[64:65], off offset:720
	v_mov_b32_e32 v29, v35
	v_mov_b32_e32 v64, v31
	;; [unrolled: 1-line block ×3, first 2 shown]
	s_waitcnt vmcnt(5)
	v_mov_b32_e32 v68, v21
	s_waitcnt lgkmcnt(2)
	v_pk_mul_f32 v[70:71], v[48:49], v[20:21] op_sel:[1,0] op_sel_hi:[0,1]
	v_mov_b32_e32 v72, v23
	s_waitcnt lgkmcnt(1)
	v_pk_mul_f32 v[74:75], v[40:41], v[22:23] op_sel:[1,0] op_sel_hi:[0,1]
	s_waitcnt vmcnt(4)
	v_mov_b32_e32 v76, v59
	s_waitcnt lgkmcnt(0)
	v_pk_mul_f32 v[78:79], v[44:45], v[58:59] op_sel:[1,0] op_sel_hi:[0,1]
	s_waitcnt vmcnt(3)
	v_pk_mul_f32 v[80:81], v[50:51], v[24:25] op_sel_hi:[1,0]
	v_mov_b32_e32 v82, v25
	v_mov_b32_e32 v84, v27
	v_pk_mul_f32 v[68:69], v[48:49], v[68:69] op_sel:[1,0] op_sel_hi:[0,1]
	v_mov_b32_e32 v31, v70
	v_pk_mul_f32 v[70:71], v[40:41], v[72:73] op_sel:[1,0] op_sel_hi:[0,1]
	;; [unrolled: 2-line block ×3, first 2 shown]
	v_mov_b32_e32 v35, v78
	s_waitcnt vmcnt(2)
	v_pk_mul_f32 v[86:87], v[46:47], v[60:61] op_sel_hi:[1,0]
	v_mov_b32_e32 v88, v61
	v_pk_fma_f32 v[74:75], v[50:51], v[82:83], v[80:81] op_sel:[0,0,1] op_sel_hi:[1,1,0]
	v_pk_fma_f32 v[50:51], v[50:51], v[24:25], v[80:81] op_sel:[0,1,1] op_sel_hi:[1,1,0] neg_lo:[1,0,0] neg_hi:[1,0,0]
	v_pk_mul_f32 v[76:77], v[42:43], v[84:85] op_sel_hi:[1,0]
	v_pk_fma_f32 v[68:69], v[48:49], v[20:21], v[68:69] neg_lo:[0,0,1] neg_hi:[0,0,1]
	v_pk_fma_f32 v[48:49], v[48:49], v[20:21], v[30:31] op_sel:[1,0,0] op_sel_hi:[0,1,1]
	v_pk_fma_f32 v[70:71], v[40:41], v[22:23], v[70:71] neg_lo:[0,0,1] neg_hi:[0,0,1]
	v_pk_fma_f32 v[40:41], v[40:41], v[22:23], v[32:33] op_sel:[1,0,0] op_sel_hi:[0,1,1]
	;; [unrolled: 2-line block ×3, first 2 shown]
	v_pk_fma_f32 v[78:79], v[46:47], v[88:89], v[86:87] op_sel:[0,0,1] op_sel_hi:[1,1,0]
	v_pk_fma_f32 v[46:47], v[46:47], v[60:61], v[86:87] op_sel:[0,1,1] op_sel_hi:[1,1,0] neg_lo:[1,0,0] neg_hi:[1,0,0]
	v_mov_b32_e32 v75, v51
	v_pk_fma_f32 v[50:51], v[42:43], v[26:27], v[76:77] op_sel:[0,0,1] op_sel_hi:[1,1,0] neg_lo:[0,0,1] neg_hi:[0,0,1]
	v_pk_fma_f32 v[42:43], v[42:43], v[26:27], v[76:77] op_sel:[0,0,1] op_sel_hi:[1,0,0]
	v_mov_b32_e32 v71, v41
	v_mov_b32_e32 v69, v49
	;; [unrolled: 1-line block ×3, first 2 shown]
	s_waitcnt vmcnt(1)
	v_pk_mul_f32 v[30:31], v[30:31], v[16:17] op_sel_hi:[0,1]
	v_pk_mul_f32 v[40:41], v[66:67], v[18:19] op_sel_hi:[0,1]
	s_waitcnt vmcnt(0)
	v_pk_mul_f32 v[34:35], v[34:35], v[56:57] op_sel_hi:[0,1]
	v_mov_b32_e32 v79, v47
	v_mov_b32_e32 v51, v43
	v_pk_add_f32 v[70:71], v[36:37], v[70:71] neg_lo:[0,1] neg_hi:[0,1]
	v_pk_add_f32 v[44:45], v[68:69], v[72:73] neg_lo:[0,1] neg_hi:[0,1]
	v_pk_fma_f32 v[46:47], v[64:65], v[16:17], v[30:31] op_sel:[0,0,1] op_sel_hi:[0,1,0] neg_lo:[1,0,0] neg_hi:[1,0,0]
	v_pk_fma_f32 v[64:65], v[64:65], v[16:17], v[30:31] op_sel:[0,0,1] op_sel_hi:[0,1,0]
	v_pk_fma_f32 v[30:31], v[32:33], v[18:19], v[40:41] op_sel:[0,0,1] op_sel_hi:[0,1,0]
	v_pk_fma_f32 v[32:33], v[32:33], v[18:19], v[40:41] op_sel:[0,0,1] op_sel_hi:[0,1,0] neg_lo:[0,0,1] neg_hi:[0,0,1]
	v_pk_fma_f32 v[40:41], v[52:53], v[56:57], v[34:35] op_sel:[0,0,1] op_sel_hi:[0,1,0] neg_lo:[1,0,0] neg_hi:[1,0,0]
	v_pk_fma_f32 v[34:35], v[52:53], v[56:57], v[34:35] op_sel:[0,0,1] op_sel_hi:[0,1,0]
	v_pk_add_f32 v[48:49], v[38:39], v[50:51] neg_lo:[0,1] neg_hi:[0,1]
	v_pk_fma_f32 v[36:37], v[36:37], 2.0, v[70:71] op_sel_hi:[1,0,1] neg_lo:[0,0,1] neg_hi:[0,0,1]
	v_pk_fma_f32 v[52:53], v[68:69], 2.0, v[44:45] op_sel_hi:[1,0,1] neg_lo:[0,0,1] neg_hi:[0,0,1]
	v_mov_b32_e32 v65, v47
	v_mov_b32_e32 v33, v31
	;; [unrolled: 1-line block ×3, first 2 shown]
	v_pk_add_f32 v[42:43], v[74:75], v[78:79] neg_lo:[0,1] neg_hi:[0,1]
	v_pk_add_f32 v[40:41], v[70:71], v[44:45] op_sel:[0,1] op_sel_hi:[1,0] neg_lo:[0,1] neg_hi:[0,1]
	v_pk_add_f32 v[30:31], v[70:71], v[44:45] op_sel:[0,1] op_sel_hi:[1,0]
	v_pk_fma_f32 v[46:47], v[38:39], 2.0, v[48:49] op_sel_hi:[1,0,1] neg_lo:[0,0,1] neg_hi:[0,0,1]
	v_pk_add_f32 v[38:39], v[36:37], v[52:53] neg_lo:[0,1] neg_hi:[0,1]
	v_pk_add_f32 v[52:53], v[28:29], v[32:33] neg_lo:[0,1] neg_hi:[0,1]
	;; [unrolled: 1-line block ×3, first 2 shown]
	v_pk_fma_f32 v[50:51], v[74:75], 2.0, v[42:43] op_sel_hi:[1,0,1] neg_lo:[0,0,1] neg_hi:[0,0,1]
	v_pk_add_f32 v[44:45], v[48:49], v[42:43] neg_lo:[0,1] neg_hi:[0,1]
	v_pk_add_f32 v[66:67], v[48:49], v[42:43]
	v_mov_b32_e32 v41, v31
	v_pk_fma_f32 v[32:33], v[36:37], 2.0, v[38:39] op_sel_hi:[1,0,1] neg_lo:[0,0,1] neg_hi:[0,0,1]
	v_pk_add_f32 v[36:37], v[52:53], v[34:35]
	v_pk_add_f32 v[30:31], v[52:53], v[34:35] neg_lo:[0,1] neg_hi:[0,1]
	v_pk_fma_f32 v[28:29], v[28:29], 2.0, v[52:53] op_sel_hi:[1,0,1] neg_lo:[0,0,1] neg_hi:[0,0,1]
	v_pk_fma_f32 v[34:35], v[64:65], 2.0, v[34:35] op_sel_hi:[1,0,1] neg_lo:[0,0,1] neg_hi:[0,0,1]
	v_pk_add_f32 v[42:43], v[46:47], v[50:51] op_sel:[0,1] op_sel_hi:[1,0] neg_lo:[0,1] neg_hi:[0,1]
	v_mov_b32_e32 v45, v67
	v_mov_b32_e32 v31, v37
	v_pk_add_f32 v[66:67], v[28:29], v[34:35] op_sel:[0,1] op_sel_hi:[1,0] neg_lo:[0,1] neg_hi:[0,1]
	v_pk_fma_f32 v[46:47], v[46:47], 2.0, v[42:43] op_sel_hi:[1,0,1] neg_lo:[0,0,1] neg_hi:[0,0,1]
	v_pk_fma_f32 v[48:49], v[48:49], 2.0, v[44:45] op_sel_hi:[1,0,1] neg_lo:[0,0,1] neg_hi:[0,0,1]
	;; [unrolled: 1-line block ×5, first 2 shown]
	ds_write2_b64 v55, v[32:33], v[46:47] offset1:44
	ds_write2_b64 v55, v[34:35], v[48:49] offset0:99 offset1:143
	ds_write2_b64 v55, v[38:39], v[42:43] offset0:198 offset1:242
	;; [unrolled: 1-line block ×3, first 2 shown]
	s_and_saveexec_b64 s[10:11], s[0:1]
	s_cbranch_execz .LBB0_11
; %bb.10:
	v_add_u32_e32 v28, 0x800, v55
	ds_write2_b64 v55, v[50:51], v[52:53] offset0:88 offset1:187
	ds_write2_b64 v28, v[66:67], v[30:31] offset0:30 offset1:129
.LBB0_11:
	s_or_b64 exec, exec, s[10:11]
	s_waitcnt lgkmcnt(0)
	; wave barrier
	s_waitcnt lgkmcnt(0)
	s_and_saveexec_b64 s[10:11], vcc
	s_cbranch_execz .LBB0_13
; %bb.12:
	global_load_dwordx2 v[28:29], v55, s[2:3] offset:3168
	s_add_u32 s12, s2, 0xc60
	s_addc_u32 s13, s3, 0
	global_load_dwordx2 v[36:37], v55, s[12:13] offset:288
	global_load_dwordx2 v[84:85], v55, s[12:13] offset:576
	global_load_dwordx2 v[86:87], v55, s[12:13] offset:864
	global_load_dwordx2 v[88:89], v55, s[12:13] offset:1152
	global_load_dwordx2 v[90:91], v55, s[12:13] offset:1440
	global_load_dwordx2 v[92:93], v55, s[12:13] offset:1728
	global_load_dwordx2 v[94:95], v55, s[12:13] offset:2016
	global_load_dwordx2 v[96:97], v55, s[12:13] offset:2304
	global_load_dwordx2 v[98:99], v55, s[12:13] offset:2592
	global_load_dwordx2 v[100:101], v55, s[12:13] offset:2880
	ds_read_b64 v[62:63], v55
	v_add_u32_e32 v102, 0x400, v55
	v_add_u32_e32 v103, 0x800, v55
	s_waitcnt vmcnt(10) lgkmcnt(0)
	v_mul_f32_e32 v64, v63, v29
	v_mul_f32_e32 v65, v62, v29
	v_fma_f32 v64, v62, v28, -v64
	v_fmac_f32_e32 v65, v63, v28
	ds_write_b64 v55, v[64:65]
	ds_read2_b64 v[62:65], v55 offset0:36 offset1:72
	ds_read2_b64 v[68:71], v55 offset0:108 offset1:144
	;; [unrolled: 1-line block ×5, first 2 shown]
	s_waitcnt vmcnt(9) lgkmcnt(4)
	v_mul_f32_e32 v28, v63, v37
	v_mul_f32_e32 v29, v62, v37
	s_waitcnt vmcnt(8)
	v_mul_f32_e32 v104, v65, v85
	v_mul_f32_e32 v37, v64, v85
	s_waitcnt vmcnt(7) lgkmcnt(3)
	v_mul_f32_e32 v105, v69, v87
	v_mul_f32_e32 v85, v68, v87
	s_waitcnt vmcnt(6)
	v_mul_f32_e32 v106, v71, v89
	v_mul_f32_e32 v87, v70, v89
	;; [unrolled: 6-line block ×5, first 2 shown]
	v_fma_f32 v28, v62, v36, -v28
	v_fmac_f32_e32 v29, v63, v36
	v_fma_f32 v36, v64, v84, -v104
	v_fmac_f32_e32 v37, v65, v84
	;; [unrolled: 2-line block ×10, first 2 shown]
	ds_write2_b64 v55, v[28:29], v[36:37] offset0:36 offset1:72
	ds_write2_b64 v55, v[84:85], v[86:87] offset0:108 offset1:144
	;; [unrolled: 1-line block ×5, first 2 shown]
.LBB0_13:
	s_or_b64 exec, exec, s[10:11]
	s_waitcnt lgkmcnt(0)
	; wave barrier
	s_waitcnt lgkmcnt(0)
	s_and_saveexec_b64 s[10:11], vcc
	s_cbranch_execz .LBB0_15
; %bb.14:
	ds_read2_b64 v[32:35], v55 offset1:36
	ds_read2_b64 v[38:41], v55 offset0:72 offset1:108
	ds_read2_b64 v[46:49], v55 offset0:144 offset1:180
	;; [unrolled: 1-line block ×3, first 2 shown]
	v_add_u32_e32 v28, 0x800, v55
	ds_read2_b64 v[50:53], v28 offset0:32 offset1:68
	ds_read_b64 v[66:67], v55 offset:2880
.LBB0_15:
	s_or_b64 exec, exec, s[10:11]
	s_waitcnt lgkmcnt(0)
	v_pk_add_f32 v[28:29], v[34:35], v[66:67] neg_lo:[0,1] neg_hi:[0,1]
	v_pk_add_f32 v[78:79], v[34:35], v[66:67]
	v_mov_b32_e32 v69, v28
	v_mov_b32_e32 v68, v78
	;; [unrolled: 1-line block ×3, first 2 shown]
	v_pk_add_f32 v[28:29], v[38:39], v[52:53] neg_lo:[0,1] neg_hi:[0,1]
	v_pk_add_f32 v[80:81], v[38:39], v[52:53]
	v_mov_b32_e32 v71, v28
	v_mov_b32_e32 v70, v80
	;; [unrolled: 1-line block ×3, first 2 shown]
	v_pk_add_f32 v[28:29], v[40:41], v[50:51] neg_lo:[0,1] neg_hi:[0,1]
	v_pk_add_f32 v[82:83], v[40:41], v[50:51]
	s_mov_b32 s24, 0xbf0a6770
	v_mov_b32_e32 v72, v82
	v_mov_b32_e32 v73, v28
	;; [unrolled: 1-line block ×3, first 2 shown]
	v_pk_add_f32 v[28:29], v[46:47], v[44:45] neg_lo:[0,1] neg_hi:[0,1]
	v_pk_add_f32 v[84:85], v[46:47], v[44:45]
	s_mov_b32 s25, 0x3f575c64
	s_mov_b32 s12, 0x3ed4b147
	v_mov_b32_e32 v74, v84
	v_mov_b32_e32 v75, v28
	;; [unrolled: 1-line block ×3, first 2 shown]
	v_pk_add_f32 v[28:29], v[48:49], v[42:43] neg_lo:[0,1] neg_hi:[0,1]
	v_pk_add_f32 v[86:87], v[48:49], v[42:43]
	v_pk_mul_f32 v[88:89], v[78:79], s[24:25]
	s_mov_b32 s10, s25
	s_mov_b32 s11, s24
	;; [unrolled: 1-line block ×4, first 2 shown]
	v_mov_b32_e32 v76, v86
	v_mov_b32_e32 v77, v28
	;; [unrolled: 1-line block ×3, first 2 shown]
	v_pk_fma_f32 v[28:29], v[68:69], s[10:11], v[88:89] neg_lo:[0,0,1] neg_hi:[0,0,1]
	v_pk_fma_f32 v[90:91], v[68:69], s[10:11], v[88:89]
	v_pk_mul_f32 v[92:93], v[80:81], s[20:21]
	s_mov_b32 s13, s20
	s_mov_b32 s26, 0xbf7d64f0
	v_mov_b32_e32 v29, v91
	v_pk_fma_f32 v[36:37], v[70:71], s[12:13], v[92:93] neg_lo:[0,0,1] neg_hi:[0,0,1]
	v_pk_fma_f32 v[94:95], v[70:71], s[12:13], v[92:93]
	s_mov_b32 s27, 0xbe11bafb
	v_pk_add_f32 v[28:29], v[32:33], v[28:29]
	v_mov_b32_e32 v37, v95
	v_pk_mul_f32 v[96:97], v[82:83], s[26:27]
	s_mov_b32 s16, s27
	s_mov_b32 s17, s26
	;; [unrolled: 1-line block ×3, first 2 shown]
	v_pk_add_f32 v[28:29], v[36:37], v[28:29]
	v_pk_fma_f32 v[36:37], v[72:73], s[16:17], v[96:97] neg_lo:[0,0,1] neg_hi:[0,0,1]
	v_pk_fma_f32 v[98:99], v[72:73], s[16:17], v[96:97]
	s_mov_b32 s31, 0xbf27a4f4
	v_mov_b32_e32 v37, v99
	v_pk_mul_f32 v[100:101], v[84:85], s[30:31]
	s_mov_b32 s14, s31
	s_mov_b32 s15, s30
	;; [unrolled: 1-line block ×3, first 2 shown]
	v_pk_add_f32 v[28:29], v[36:37], v[28:29]
	v_pk_fma_f32 v[36:37], v[74:75], s[14:15], v[100:101] neg_lo:[0,0,1] neg_hi:[0,0,1]
	v_pk_fma_f32 v[102:103], v[74:75], s[14:15], v[100:101]
	s_mov_b32 s35, 0xbf75a155
	v_mov_b32_e32 v37, v103
	v_pk_mul_f32 v[112:113], v[86:87], s[34:35]
	s_mov_b32 s18, s35
	s_mov_b32 s19, s34
	v_pk_add_f32 v[28:29], v[36:37], v[28:29]
	v_pk_fma_f32 v[36:37], v[76:77], s[18:19], v[112:113] neg_lo:[0,0,1] neg_hi:[0,0,1]
	v_pk_fma_f32 v[114:115], v[76:77], s[18:19], v[112:113]
	v_pk_mul_f32 v[106:107], v[78:79], s[20:21]
	v_mov_b32_e32 v37, v115
	v_pk_add_f32 v[28:29], v[36:37], v[28:29]
	v_pk_fma_f32 v[36:37], v[68:69], s[12:13], v[106:107] neg_lo:[0,0,1] neg_hi:[0,0,1]
	v_pk_fma_f32 v[104:105], v[68:69], s[12:13], v[106:107]
	v_pk_mul_f32 v[110:111], v[80:81], s[30:31]
	v_mov_b32_e32 v37, v105
	v_pk_fma_f32 v[116:117], v[70:71], s[14:15], v[110:111] neg_lo:[0,0,1] neg_hi:[0,0,1]
	v_pk_fma_f32 v[108:109], v[70:71], s[14:15], v[110:111]
	v_pk_add_f32 v[36:37], v[32:33], v[36:37]
	v_mov_b32_e32 v117, v109
	s_mov_b32 s42, 0x3e903f40
	s_mov_b32 s43, s35
	v_pk_add_f32 v[36:37], v[116:117], v[36:37]
	v_pk_mul_f32 v[116:117], v[82:83], s[42:43]
	s_mov_b32 s20, s35
	s_mov_b32 s21, s42
	v_pk_fma_f32 v[120:121], v[72:73], s[20:21], v[116:117] neg_lo:[0,0,1] neg_hi:[0,0,1]
	v_pk_fma_f32 v[118:119], v[72:73], s[20:21], v[116:117]
	s_mov_b32 s40, 0x3f7d64f0
	v_mov_b32_e32 v121, v119
	s_mov_b32 s41, s27
	v_pk_add_f32 v[36:37], v[120:121], v[36:37]
	v_pk_mul_f32 v[120:121], v[84:85], s[40:41]
	s_mov_b32 s28, s27
	s_mov_b32 s29, s40
	v_pk_fma_f32 v[124:125], v[74:75], s[28:29], v[120:121] neg_lo:[0,0,1] neg_hi:[0,0,1]
	v_pk_fma_f32 v[122:123], v[74:75], s[28:29], v[120:121]
	s_mov_b32 s38, 0x3f0a6770
	v_mov_b32_e32 v125, v123
	s_mov_b32 s39, s25
	v_pk_add_f32 v[36:37], v[124:125], v[36:37]
	v_pk_mul_f32 v[124:125], v[86:87], s[38:39]
	s_mov_b32 s36, s25
	s_mov_b32 s37, s38
	v_pk_fma_f32 v[132:133], v[76:77], s[36:37], v[124:125] neg_lo:[0,0,1] neg_hi:[0,0,1]
	v_pk_fma_f32 v[126:127], v[76:77], s[36:37], v[124:125]
	v_mov_b32_e32 v64, v10
	v_mov_b32_e32 v133, v127
	;; [unrolled: 1-line block ×7, first 2 shown]
	v_pk_add_f32 v[36:37], v[132:133], v[36:37]
	s_waitcnt lgkmcnt(0)
	; wave barrier
	s_and_saveexec_b64 s[22:23], vcc
	s_cbranch_execz .LBB0_17
; %bb.16:
	v_pk_add_f32 v[34:35], v[34:35], v[32:33]
	v_pk_mul_f32 v[132:133], v[68:69], s[10:11]
	v_pk_add_f32 v[34:35], v[38:39], v[34:35]
	v_pk_mul_f32 v[134:135], v[70:71], s[12:13]
	v_pk_add_f32 v[34:35], v[40:41], v[34:35]
	v_pk_add_f32 v[38:39], v[88:89], v[132:133] neg_lo:[0,1] neg_hi:[0,1]
	v_pk_add_f32 v[34:35], v[46:47], v[34:35]
	v_pk_mul_f32 v[136:137], v[72:73], s[16:17]
	v_pk_add_f32 v[34:35], v[48:49], v[34:35]
	v_mov_b32_e32 v91, v39
	v_pk_add_f32 v[40:41], v[92:93], v[134:135] neg_lo:[0,1] neg_hi:[0,1]
	v_pk_mul_f32 v[138:139], v[74:75], s[14:15]
	v_pk_add_f32 v[34:35], v[42:43], v[34:35]
	v_pk_add_f32 v[38:39], v[32:33], v[90:91]
	v_mov_b32_e32 v95, v41
	v_pk_add_f32 v[40:41], v[96:97], v[136:137] neg_lo:[0,1] neg_hi:[0,1]
	v_pk_mul_f32 v[140:141], v[76:77], s[18:19]
	v_pk_add_f32 v[34:35], v[44:45], v[34:35]
	v_pk_add_f32 v[38:39], v[94:95], v[38:39]
	v_mov_b32_e32 v99, v41
	v_pk_add_f32 v[40:41], v[100:101], v[138:139] neg_lo:[0,1] neg_hi:[0,1]
	v_pk_add_f32 v[34:35], v[50:51], v[34:35]
	v_pk_add_f32 v[38:39], v[98:99], v[38:39]
	v_mov_b32_e32 v103, v41
	v_pk_add_f32 v[40:41], v[112:113], v[140:141] neg_lo:[0,1] neg_hi:[0,1]
	v_pk_add_f32 v[34:35], v[52:53], v[34:35]
	v_pk_add_f32 v[38:39], v[102:103], v[38:39]
	v_mov_b32_e32 v115, v41
	v_pk_mul_f32 v[144:145], v[70:71], s[14:15]
	v_lshlrev_b32_e32 v129, 3, v129
	v_pk_add_f32 v[34:35], v[66:67], v[34:35]
	v_pk_add_f32 v[38:39], v[114:115], v[38:39]
	v_pk_mul_f32 v[146:147], v[72:73], s[20:21]
	ds_write2_b64 v129, v[34:35], v[38:39] offset1:1
	v_pk_add_f32 v[38:39], v[110:111], v[144:145] neg_lo:[0,1] neg_hi:[0,1]
	v_pk_mul_f32 v[148:149], v[74:75], s[28:29]
	v_mov_b32_e32 v109, v39
	v_pk_add_f32 v[38:39], v[116:117], v[146:147] neg_lo:[0,1] neg_hi:[0,1]
	v_pk_mul_f32 v[150:151], v[76:77], s[36:37]
	v_mov_b32_e32 v119, v39
	;; [unrolled: 3-line block ×4, first 2 shown]
	v_pk_mul_f32 v[38:39], v[78:79], s[26:27]
	s_mov_b32 s13, 0x3f68dda4
	v_pk_fma_f32 v[48:49], v[68:69], s[16:17], v[38:39]
	v_pk_fma_f32 v[50:51], v[68:69], s[16:17], v[38:39] neg_lo:[1,0,0] neg_hi:[1,0,0]
	s_mov_b32 s42, s13
	s_mov_b32 s43, s12
	v_mov_b32_e32 v50, v48
	v_pk_fma_f32 v[52:53], v[70:71], s[20:21], v[40:41]
	v_pk_fma_f32 v[66:67], v[70:71], s[20:21], v[40:41] neg_lo:[1,0,0] neg_hi:[1,0,0]
	v_pk_mul_f32 v[42:43], v[82:83], s[42:43]
	v_pk_add_f32 v[50:51], v[32:33], v[50:51]
	v_mov_b32_e32 v66, v52
	v_pk_add_f32 v[34:35], v[106:107], v[142:143] neg_lo:[0,1] neg_hi:[0,1]
	v_pk_add_f32 v[50:51], v[66:67], v[50:51]
	v_pk_fma_f32 v[66:67], v[72:73], s[12:13], v[42:43]
	v_pk_fma_f32 v[88:89], v[72:73], s[12:13], v[42:43] neg_lo:[1,0,0] neg_hi:[1,0,0]
	v_mov_b32_e32 v105, v35
	v_pk_mul_f32 v[44:45], v[84:85], s[24:25]
	v_mov_b32_e32 v88, v66
	v_pk_add_f32 v[34:35], v[32:33], v[104:105]
	v_pk_add_f32 v[50:51], v[88:89], v[50:51]
	v_pk_fma_f32 v[88:89], v[74:75], s[10:11], v[44:45]
	v_pk_fma_f32 v[90:91], v[74:75], s[10:11], v[44:45] neg_lo:[1,0,0] neg_hi:[1,0,0]
	v_pk_add_f32 v[34:35], v[108:109], v[34:35]
	v_pk_mul_f32 v[46:47], v[86:87], s[30:31]
	v_mov_b32_e32 v90, v88
	v_pk_add_f32 v[34:35], v[118:119], v[34:35]
	v_pk_add_f32 v[50:51], v[90:91], v[50:51]
	v_pk_fma_f32 v[90:91], v[76:77], s[14:15], v[46:47]
	v_pk_fma_f32 v[92:93], v[76:77], s[14:15], v[46:47] neg_lo:[1,0,0] neg_hi:[1,0,0]
	v_pk_add_f32 v[34:35], v[122:123], v[34:35]
	v_mov_b32_e32 v92, v90
	v_pk_add_f32 v[34:35], v[126:127], v[34:35]
	v_pk_add_f32 v[50:51], v[92:93], v[50:51]
	ds_write2_b64 v129, v[34:35], v[50:51] offset0:2 offset1:3
	v_pk_mul_f32 v[34:35], v[78:79], s[30:31]
	v_pk_mul_f32 v[94:95], v[80:81], s[40:41]
	v_pk_fma_f32 v[50:51], v[68:69], s[14:15], v[34:35]
	v_pk_fma_f32 v[92:93], v[68:69], s[14:15], v[34:35] neg_lo:[1,0,0] neg_hi:[1,0,0]
	v_pk_fma_f32 v[96:97], v[70:71], s[28:29], v[94:95]
	v_mov_b32_e32 v92, v50
	v_pk_fma_f32 v[98:99], v[70:71], s[28:29], v[94:95] neg_lo:[1,0,0] neg_hi:[1,0,0]
	v_pk_add_f32 v[92:93], v[32:33], v[92:93]
	v_mov_b32_e32 v98, v96
	v_pk_add_f32 v[92:93], v[98:99], v[92:93]
	v_pk_mul_f32 v[98:99], v[82:83], s[24:25]
	v_pk_mul_f32 v[78:79], v[78:79], s[34:35]
	v_pk_fma_f32 v[100:101], v[72:73], s[10:11], v[98:99]
	v_pk_fma_f32 v[102:103], v[72:73], s[10:11], v[98:99] neg_lo:[1,0,0] neg_hi:[1,0,0]
	v_pk_mul_f32 v[80:81], v[80:81], s[38:39]
	v_mov_b32_e32 v102, v100
	v_pk_add_f32 v[92:93], v[102:103], v[92:93]
	v_pk_mul_f32 v[102:103], v[84:85], s[34:35]
	v_pk_fma_f32 v[112:113], v[68:69], s[18:19], v[78:79] neg_lo:[1,0,0] neg_hi:[1,0,0]
	v_pk_fma_f32 v[104:105], v[74:75], s[18:19], v[102:103]
	v_pk_fma_f32 v[106:107], v[74:75], s[18:19], v[102:103] neg_lo:[1,0,0] neg_hi:[1,0,0]
	v_pk_fma_f32 v[34:35], v[68:69], s[14:15], v[34:35] neg_lo:[0,0,1] neg_hi:[0,0,1]
	v_mov_b32_e32 v106, v104
	v_pk_add_f32 v[92:93], v[106:107], v[92:93]
	v_pk_mul_f32 v[106:107], v[86:87], s[42:43]
	v_pk_fma_f32 v[114:115], v[70:71], s[36:37], v[80:81]
	v_pk_fma_f32 v[108:109], v[76:77], s[12:13], v[106:107]
	v_pk_fma_f32 v[110:111], v[76:77], s[12:13], v[106:107] neg_lo:[1,0,0] neg_hi:[1,0,0]
	v_pk_fma_f32 v[116:117], v[70:71], s[36:37], v[80:81] neg_lo:[1,0,0] neg_hi:[1,0,0]
	v_mov_b32_e32 v110, v108
	v_pk_add_f32 v[92:93], v[110:111], v[92:93]
	v_pk_fma_f32 v[110:111], v[68:69], s[18:19], v[78:79]
	v_pk_fma_f32 v[78:79], v[68:69], s[18:19], v[78:79] neg_lo:[0,0,1] neg_hi:[0,0,1]
	v_mov_b32_e32 v112, v110
	v_mov_b32_e32 v79, v111
	v_pk_fma_f32 v[80:81], v[70:71], s[36:37], v[80:81] neg_lo:[0,0,1] neg_hi:[0,0,1]
	v_mov_b32_e32 v35, v51
	v_pk_fma_f32 v[50:51], v[70:71], s[28:29], v[94:95] neg_lo:[0,0,1] neg_hi:[0,0,1]
	v_pk_mul_f32 v[82:83], v[82:83], s[30:31]
	v_pk_add_f32 v[112:113], v[32:33], v[112:113]
	v_mov_b32_e32 v116, v114
	v_pk_add_f32 v[78:79], v[32:33], v[78:79]
	v_mov_b32_e32 v81, v115
	;; [unrolled: 2-line block ×3, first 2 shown]
	v_pk_add_f32 v[112:113], v[116:117], v[112:113]
	v_pk_fma_f32 v[116:117], v[72:73], s[14:15], v[82:83]
	v_pk_fma_f32 v[118:119], v[72:73], s[14:15], v[82:83] neg_lo:[1,0,0] neg_hi:[1,0,0]
	v_pk_add_f32 v[78:79], v[80:81], v[78:79]
	v_pk_fma_f32 v[80:81], v[72:73], s[14:15], v[82:83] neg_lo:[0,0,1] neg_hi:[0,0,1]
	v_pk_add_f32 v[34:35], v[50:51], v[34:35]
	v_pk_fma_f32 v[50:51], v[72:73], s[10:11], v[98:99] neg_lo:[0,0,1] neg_hi:[0,0,1]
	v_pk_mul_f32 v[84:85], v[84:85], s[42:43]
	v_mov_b32_e32 v118, v116
	v_mov_b32_e32 v81, v117
	v_mov_b32_e32 v51, v101
	v_pk_add_f32 v[112:113], v[118:119], v[112:113]
	v_pk_fma_f32 v[118:119], v[74:75], s[12:13], v[84:85]
	v_pk_fma_f32 v[120:121], v[74:75], s[12:13], v[84:85] neg_lo:[1,0,0] neg_hi:[1,0,0]
	v_pk_add_f32 v[78:79], v[80:81], v[78:79]
	v_pk_fma_f32 v[80:81], v[74:75], s[12:13], v[84:85] neg_lo:[0,0,1] neg_hi:[0,0,1]
	v_pk_add_f32 v[34:35], v[50:51], v[34:35]
	v_pk_fma_f32 v[50:51], v[74:75], s[18:19], v[102:103] neg_lo:[0,0,1] neg_hi:[0,0,1]
	v_pk_mul_f32 v[86:87], v[86:87], s[26:27]
	v_mov_b32_e32 v120, v118
	v_mov_b32_e32 v81, v119
	;; [unrolled: 1-line block ×3, first 2 shown]
	v_pk_add_f32 v[112:113], v[120:121], v[112:113]
	v_pk_fma_f32 v[120:121], v[76:77], s[16:17], v[86:87]
	v_pk_add_f32 v[78:79], v[80:81], v[78:79]
	v_pk_fma_f32 v[80:81], v[76:77], s[16:17], v[86:87] neg_lo:[0,0,1] neg_hi:[0,0,1]
	v_pk_add_f32 v[34:35], v[50:51], v[34:35]
	v_pk_fma_f32 v[50:51], v[76:77], s[12:13], v[106:107] neg_lo:[0,0,1] neg_hi:[0,0,1]
	v_mov_b32_e32 v81, v121
	v_mov_b32_e32 v51, v109
	v_pk_add_f32 v[78:79], v[80:81], v[78:79]
	v_pk_add_f32 v[34:35], v[50:51], v[34:35]
	ds_write2_b64 v129, v[78:79], v[34:35] offset0:6 offset1:7
	v_pk_fma_f32 v[34:35], v[68:69], s[16:17], v[38:39] neg_lo:[0,0,1] neg_hi:[0,0,1]
	v_pk_fma_f32 v[122:123], v[76:77], s[16:17], v[86:87] neg_lo:[1,0,0] neg_hi:[1,0,0]
	v_mov_b32_e32 v35, v49
	v_pk_add_f32 v[32:33], v[32:33], v[34:35]
	v_pk_fma_f32 v[34:35], v[70:71], s[20:21], v[40:41] neg_lo:[0,0,1] neg_hi:[0,0,1]
	v_mov_b32_e32 v122, v120
	v_mov_b32_e32 v35, v53
	v_pk_add_f32 v[32:33], v[34:35], v[32:33]
	v_pk_fma_f32 v[34:35], v[72:73], s[12:13], v[42:43] neg_lo:[0,0,1] neg_hi:[0,0,1]
	v_pk_add_f32 v[112:113], v[122:123], v[112:113]
	v_mov_b32_e32 v35, v67
	v_pk_add_f32 v[32:33], v[34:35], v[32:33]
	v_pk_fma_f32 v[34:35], v[74:75], s[10:11], v[44:45] neg_lo:[0,0,1] neg_hi:[0,0,1]
	ds_write2_b64 v129, v[92:93], v[112:113] offset0:4 offset1:5
	v_mov_b32_e32 v35, v89
	v_pk_add_f32 v[32:33], v[34:35], v[32:33]
	v_pk_fma_f32 v[34:35], v[76:77], s[14:15], v[46:47] neg_lo:[0,0,1] neg_hi:[0,0,1]
	s_nop 0
	v_mov_b32_e32 v35, v91
	v_pk_add_f32 v[32:33], v[34:35], v[32:33]
	ds_write2_b64 v129, v[32:33], v[36:37] offset0:8 offset1:9
	ds_write_b64 v129, v[28:29] offset:80
.LBB0_17:
	s_or_b64 exec, exec, s[22:23]
	s_waitcnt lgkmcnt(0)
	; wave barrier
	s_waitcnt lgkmcnt(0)
	ds_read2_b64 v[40:43], v55 offset0:88 offset1:132
	v_add_u32_e32 v44, 0x800, v55
	v_mov_b32_e32 v38, v26
	v_mov_b32_e32 v39, v26
	;; [unrolled: 1-line block ×3, first 2 shown]
	ds_read2_b64 v[46:49], v44 offset0:8 offset1:52
	s_waitcnt lgkmcnt(1)
	v_pk_mul_f32 v[34:35], v[26:27], v[42:43] op_sel:[0,1] op_sel_hi:[1,0]
	v_pk_mul_f32 v[50:51], v[8:9], v[42:43] op_sel:[0,1] op_sel_hi:[1,0]
	v_pk_fma_f32 v[34:35], v[8:9], v[42:43], v[34:35]
	s_mov_b32 s10, 0x3f5db3d7
	v_mov_b32_e32 v35, v50
	v_pk_fma_f32 v[8:9], v[8:9], v[42:43], v[34:35] op_sel:[0,1,0] op_sel_hi:[1,0,1] neg_lo:[1,0,0] neg_hi:[1,0,0]
	s_waitcnt lgkmcnt(0)
	v_pk_mul_f32 v[50:51], v[6:7], v[46:47] op_sel:[0,1] op_sel_hi:[1,0]
	v_mov_b32_e32 v8, v7
	v_pk_mul_f32 v[42:43], v[8:9], v[46:47] op_sel:[0,1] op_sel_hi:[1,0]
	v_mov_b32_e32 v35, v50
	v_pk_fma_f32 v[42:43], v[6:7], v[46:47], v[42:43]
	v_pk_fma_f32 v[6:7], v[6:7], v[46:47], v[34:35] op_sel:[0,1,0] op_sel_hi:[1,0,1] neg_lo:[1,0,0] neg_hi:[1,0,0]
	v_mov_b32_e32 v35, v9
	v_mov_b32_e32 v43, v7
	ds_read2_b64 v[6:9], v55 offset1:44
	v_pk_add_f32 v[46:47], v[34:35], v[42:43]
	v_pk_add_f32 v[34:35], v[34:35], v[42:43] neg_lo:[0,1] neg_hi:[0,1]
	s_mov_b32 s12, 0x3f441b7d
	v_pk_mul_f32 v[42:43], v[34:35], s[10:11] op_sel_hi:[1,0]
	ds_read2_b64 v[50:53], v55 offset0:176 offset1:220
	ds_read_b64 v[34:35], v55 offset:2816
	s_waitcnt lgkmcnt(2)
	v_pk_mul_f32 v[66:67], v[12:13], v[8:9] op_sel:[1,0]
	s_mov_b32 s16, 0x3e31d0d4
	v_pk_fma_f32 v[68:69], v[12:13], v[8:9], v[66:67] op_sel:[0,0,1] op_sel_hi:[1,1,0]
	v_pk_fma_f32 v[8:9], v[12:13], v[8:9], v[66:67] op_sel:[0,0,1] op_sel_hi:[0,1,0] neg_lo:[0,0,1] neg_hi:[0,0,1]
	v_mov_b32_e32 v69, v9
	v_pk_mul_f32 v[8:9], v[14:15], v[40:41] op_sel:[1,0]
	s_waitcnt lgkmcnt(1)
	v_pk_mul_f32 v[4:5], v[4:5], v[52:53]
	v_pk_fma_f32 v[12:13], v[14:15], v[40:41], v[8:9] op_sel:[0,0,1] op_sel_hi:[1,1,0]
	v_pk_fma_f32 v[8:9], v[14:15], v[40:41], v[8:9] op_sel:[0,0,1] op_sel_hi:[0,1,0] neg_lo:[0,0,1] neg_hi:[0,0,1]
	v_mov_b32_e32 v13, v9
	v_pk_mul_f32 v[8:9], v[10:11], v[50:51]
	v_pk_mul_f32 v[40:41], v[0:1], v[48:49] op_sel:[1,0]
	v_pk_fma_f32 v[10:11], v[64:65], v[50:51], v[8:9] op_sel:[0,0,1] op_sel_hi:[1,1,0]
	v_pk_fma_f32 v[8:9], v[64:65], v[50:51], v[8:9] op_sel:[0,0,1] op_sel_hi:[1,1,0] neg_lo:[0,0,1] neg_hi:[0,0,1]
	v_pk_fma_f32 v[50:51], v[0:1], v[48:49], v[40:41] op_sel:[0,0,1] op_sel_hi:[1,1,0]
	v_pk_fma_f32 v[0:1], v[0:1], v[48:49], v[40:41] op_sel:[0,0,1] op_sel_hi:[0,1,0] neg_lo:[0,0,1] neg_hi:[0,0,1]
	v_mov_b32_e32 v51, v1
	s_waitcnt lgkmcnt(0)
	v_pk_mul_f32 v[0:1], v[2:3], v[34:35] op_sel:[1,0]
	v_pk_fma_f32 v[14:15], v[62:63], v[52:53], v[4:5] op_sel:[0,0,1] op_sel_hi:[1,1,0]
	v_pk_fma_f32 v[40:41], v[2:3], v[34:35], v[0:1] op_sel:[0,0,1] op_sel_hi:[1,1,0]
	v_pk_fma_f32 v[0:1], v[2:3], v[34:35], v[0:1] op_sel:[0,0,1] op_sel_hi:[0,1,0] neg_lo:[0,0,1] neg_hi:[0,0,1]
	v_mov_b32_e32 v41, v1
	v_pk_add_f32 v[0:1], v[68:69], v[40:41]
	v_pk_fma_f32 v[4:5], v[62:63], v[52:53], v[4:5] op_sel:[0,0,1] op_sel_hi:[1,1,0] neg_lo:[0,0,1] neg_hi:[0,0,1]
	v_pk_add_f32 v[2:3], v[12:13], v[50:51]
	v_pk_fma_f32 v[34:35], v[0:1], s[12:13], v[6:7] op_sel_hi:[1,0,1]
	v_mov_b32_e32 v11, v9
	v_mov_b32_e32 v15, v5
	;; [unrolled: 1-line block ×6, first 2 shown]
	v_pk_fma_f32 v[34:35], v[2:3], s[16:17], v[34:35] op_sel_hi:[1,0,1]
	v_pk_add_f32 v[48:49], v[8:9], v[4:5] neg_lo:[0,1] neg_hi:[0,1]
	v_pk_fma_f32 v[34:35], v[46:47], 0.5, v[34:35] op_sel_hi:[1,0,1] neg_lo:[1,0,0] neg_hi:[1,0,0]
	v_pk_add_f32 v[4:5], v[8:9], v[4:5]
	s_mov_b32 s18, 0x3f708fb2
	v_pk_add_f32 v[52:53], v[2:3], v[0:1]
	v_pk_fma_f32 v[8:9], v[4:5], s[18:19], v[34:35] op_sel:[1,0,0] op_sel_hi:[0,0,1] neg_lo:[1,0,0] neg_hi:[1,0,0]
	v_pk_add_f32 v[34:35], v[46:47], v[52:53]
	s_mov_b32 s20, 0x3f248dbb
	v_pk_add_f32 v[10:11], v[10:11], v[34:35]
	v_pk_add_f32 v[12:13], v[12:13], v[50:51] neg_lo:[0,1] neg_hi:[0,1]
	v_pk_add_f32 v[10:11], v[14:15], v[10:11]
	v_pk_add_f32 v[14:15], v[68:69], v[40:41] neg_lo:[0,1] neg_hi:[0,1]
	s_mov_b32 s21, 0x3f7c1c5c
	v_mov_b32_e32 v40, v13
	v_mov_b32_e32 v41, v14
	s_mov_b32 s22, s21
	s_mov_b32 s23, s20
	v_mov_b32_e32 v34, v15
	v_mov_b32_e32 v35, v12
	v_pk_mul_f32 v[40:41], v[40:41], s[22:23]
	s_mov_b32 s14, 0x3eaf1d44
	v_pk_fma_f32 v[34:35], v[34:35], s[20:21], v[40:41]
	s_mov_b32 s20, s21
	v_pk_add_f32 v[34:35], v[42:43], v[34:35] op_sel:[1,0] op_sel_hi:[0,1]
	v_pk_fma_f32 v[40:41], v[48:49], s[14:15], v[34:35] op_sel_hi:[1,0,1]
	s_mov_b32 s22, 0xbf248dbb
	v_pk_add_f32 v[50:51], v[8:9], v[40:41] neg_lo:[0,1] neg_hi:[0,1]
	v_pk_add_f32 v[8:9], v[8:9], v[40:41]
	v_pk_mul_f32 v[62:63], v[12:13], s[14:15] op_sel_hi:[1,0]
	v_mov_b32_e32 v51, v9
	v_pk_mul_f32 v[8:9], v[14:15], s[20:21] op_sel_hi:[1,0]
	v_pk_add_f32 v[10:11], v[10:11], v[6:7]
	v_pk_fma_f32 v[8:9], v[48:49], s[22:23], v[8:9] op_sel:[0,0,1] op_sel_hi:[1,0,0]
	s_nop 0
	v_pk_add_f32 v[8:9], v[8:9], v[42:43] op_sel:[0,1] op_sel_hi:[1,0] neg_lo:[0,1] neg_hi:[0,1]
	; wave barrier
	s_nop 0
	v_pk_add_f32 v[8:9], v[62:63], v[8:9] op_sel:[1,0] op_sel_hi:[0,1]
	v_pk_fma_f32 v[62:63], v[4:5], s[12:13], v[6:7] op_sel:[1,0,0] op_sel_hi:[0,0,1]
	v_pk_fma_f32 v[62:63], v[0:1], s[16:17], v[62:63] op_sel_hi:[1,0,1]
	ds_write2_b64 v130, v[10:11], v[50:51] offset1:11
	v_pk_fma_f32 v[62:63], v[46:47], 0.5, v[62:63] op_sel_hi:[1,0,1] neg_lo:[1,0,0] neg_hi:[1,0,0]
	v_pk_add_f32 v[10:11], v[4:5], v[52:53] op_sel:[1,0] op_sel_hi:[0,1]
	v_pk_fma_f32 v[62:63], v[2:3], s[18:19], v[62:63] op_sel_hi:[1,0,1] neg_lo:[1,0,0] neg_hi:[1,0,0]
	v_pk_fma_f32 v[2:3], v[2:3], s[12:13], v[6:7] op_sel_hi:[1,0,1]
	v_pk_add_f32 v[64:65], v[62:63], v[8:9] neg_lo:[0,1] neg_hi:[0,1]
	v_pk_fma_f32 v[2:3], v[4:5], s[16:17], v[2:3] op_sel:[1,0,0] op_sel_hi:[0,0,1]
	v_pk_fma_f32 v[2:3], v[46:47], 0.5, v[2:3] op_sel_hi:[1,0,1] neg_lo:[1,0,0] neg_hi:[1,0,0]
	v_pk_add_f32 v[62:63], v[62:63], v[8:9]
	v_pk_fma_f32 v[0:1], v[0:1], s[18:19], v[2:3] op_sel_hi:[1,0,1] neg_lo:[1,0,0] neg_hi:[1,0,0]
	v_pk_mul_f32 v[2:3], v[12:13], s[22:23] op_sel_hi:[1,0]
	v_fma_f32 v62, 2.0, v8, v64
	v_mov_b32_e32 v65, v63
	v_fmac_f32_e32 v63, -2.0, v9
	v_pk_add_f32 v[8:9], v[46:47], v[6:7]
	v_pk_fma_f32 v[2:3], v[48:49], s[20:21], v[2:3] op_sel:[0,0,1] op_sel_hi:[1,0,0] neg_lo:[1,0,0] neg_hi:[1,0,0]
	v_pk_fma_f32 v[8:9], v[10:11], 0.5, v[8:9] op_sel_hi:[1,0,1] neg_lo:[1,0,0] neg_hi:[1,0,0]
	v_pk_add_f32 v[10:11], v[48:49], v[14:15] op_sel:[0,1] op_sel_hi:[1,0]
	v_pk_add_f32 v[2:3], v[42:43], v[2:3] op_sel:[1,0] op_sel_hi:[0,1]
	v_pk_mul_f32 v[4:5], v[14:15], s[14:15] op_sel_hi:[1,0]
	v_pk_add_f32 v[10:11], v[10:11], v[12:13] op_sel:[0,1] op_sel_hi:[1,0] neg_lo:[0,1] neg_hi:[0,1]
	v_pk_add_f32 v[2:3], v[4:5], v[2:3] op_sel:[1,0] op_sel_hi:[0,1]
	v_pk_fma_f32 v[34:35], v[40:41], 2.0, v[50:51] op_sel_hi:[1,0,1]
	v_pk_fma_f32 v[40:41], v[40:41], 2.0, v[50:51] op_sel_hi:[1,0,1] neg_lo:[1,0,0] neg_hi:[1,0,0]
	v_pk_mul_f32 v[50:51], v[10:11], s[10:11] op_sel_hi:[1,0]
	v_pk_fma_f32 v[52:53], v[10:11], s[10:11], v[8:9] op_sel_hi:[1,0,1] neg_lo:[1,0,0] neg_hi:[1,0,0]
	v_pk_fma_f32 v[8:9], v[10:11], s[10:11], v[8:9] op_sel_hi:[1,0,1]
	v_pk_add_f32 v[4:5], v[0:1], v[2:3] neg_lo:[0,1] neg_hi:[0,1]
	v_pk_add_f32 v[0:1], v[0:1], v[2:3]
	v_fma_f32 v8, 2.0, v50, v52
	v_mov_b32_e32 v53, v9
	v_fmac_f32_e32 v9, -2.0, v51
	v_fma_f32 v0, 2.0, v2, v4
	v_mov_b32_e32 v5, v1
	v_fmac_f32_e32 v1, -2.0, v3
	v_mov_b32_e32 v35, v41
	ds_write2_b64 v130, v[64:65], v[52:53] offset0:22 offset1:33
	ds_write2_b64 v130, v[4:5], v[0:1] offset0:44 offset1:55
	;; [unrolled: 1-line block ×3, first 2 shown]
	ds_write_b64 v130, v[34:35] offset:704
	s_waitcnt lgkmcnt(0)
	; wave barrier
	s_waitcnt lgkmcnt(0)
	ds_read2_b64 v[0:3], v55 offset1:44
	ds_read2_b64 v[12:15], v55 offset0:99 offset1:143
	ds_read2_b64 v[8:11], v55 offset0:198 offset1:242
	;; [unrolled: 1-line block ×3, first 2 shown]
	v_mov_b32_e32 v32, v24
	v_mov_b32_e32 v33, v24
	;; [unrolled: 1-line block ×7, first 2 shown]
	s_and_saveexec_b64 s[10:11], s[0:1]
	s_cbranch_execz .LBB0_19
; %bb.18:
	ds_read2_b64 v[34:37], v55 offset0:88 offset1:187
	ds_read2_b64 v[28:31], v44 offset0:30 offset1:129
	s_waitcnt lgkmcnt(1)
	v_mov_b32_e32 v41, v35
.LBB0_19:
	s_or_b64 exec, exec, s[10:11]
	s_waitcnt lgkmcnt(2)
	v_pk_mul_f32 v[46:47], v[20:21], v[12:13] op_sel:[1,0]
	s_waitcnt lgkmcnt(1)
	v_pk_mul_f32 v[48:49], v[22:23], v[8:9] op_sel:[1,0]
	s_waitcnt lgkmcnt(0)
	v_pk_mul_f32 v[52:53], v[60:61], v[6:7]
	v_pk_fma_f32 v[60:61], v[20:21], v[12:13], v[46:47] op_sel:[0,0,1] op_sel_hi:[1,1,0]
	v_pk_fma_f32 v[12:13], v[20:21], v[12:13], v[46:47] op_sel:[0,0,1] op_sel_hi:[0,1,0] neg_lo:[0,0,1] neg_hi:[0,0,1]
	v_pk_mul_f32 v[50:51], v[58:59], v[4:5] op_sel:[1,0]
	v_mov_b32_e32 v61, v13
	v_pk_fma_f32 v[12:13], v[22:23], v[8:9], v[48:49] op_sel:[0,0,1] op_sel_hi:[1,1,0]
	v_pk_fma_f32 v[8:9], v[22:23], v[8:9], v[48:49] op_sel:[0,0,1] op_sel_hi:[0,1,0] neg_lo:[0,0,1] neg_hi:[0,0,1]
	v_mov_b32_e32 v13, v9
	v_pk_fma_f32 v[8:9], v[58:59], v[4:5], v[50:51] op_sel:[0,0,1] op_sel_hi:[1,1,0]
	v_pk_fma_f32 v[4:5], v[58:59], v[4:5], v[50:51] op_sel:[0,0,1] op_sel_hi:[0,1,0] neg_lo:[0,0,1] neg_hi:[0,0,1]
	v_mov_b32_e32 v9, v5
	v_pk_add_f32 v[4:5], v[0:1], v[12:13] neg_lo:[0,1] neg_hi:[0,1]
	v_pk_add_f32 v[8:9], v[60:61], v[8:9] neg_lo:[0,1] neg_hi:[0,1]
	v_pk_mul_f32 v[24:25], v[24:25], v[14:15]
	v_pk_fma_f32 v[12:13], v[60:61], 2.0, v[8:9] op_sel_hi:[1,0,1] neg_lo:[0,0,1] neg_hi:[0,0,1]
	v_pk_add_f32 v[20:21], v[4:5], v[8:9] op_sel:[0,1] op_sel_hi:[1,0]
	v_pk_add_f32 v[8:9], v[4:5], v[8:9] op_sel:[0,1] op_sel_hi:[1,0] neg_lo:[0,1] neg_hi:[0,1]
	v_pk_mul_f32 v[26:27], v[26:27], v[10:11]
	v_mov_b32_e32 v21, v9
	v_pk_fma_f32 v[8:9], v[32:33], v[14:15], v[24:25] op_sel:[0,0,1] op_sel_hi:[1,1,0]
	v_pk_fma_f32 v[14:15], v[32:33], v[14:15], v[24:25] op_sel:[0,0,1] op_sel_hi:[1,1,0] neg_lo:[0,0,1] neg_hi:[0,0,1]
	v_pk_fma_f32 v[0:1], v[0:1], 2.0, v[4:5] op_sel_hi:[1,0,1] neg_lo:[0,0,1] neg_hi:[0,0,1]
	v_mov_b32_e32 v9, v15
	v_pk_fma_f32 v[14:15], v[38:39], v[10:11], v[26:27] op_sel:[0,0,1] op_sel_hi:[1,1,0]
	v_pk_fma_f32 v[10:11], v[38:39], v[10:11], v[26:27] op_sel:[0,0,1] op_sel_hi:[1,1,0] neg_lo:[0,0,1] neg_hi:[0,0,1]
	v_pk_add_f32 v[12:13], v[0:1], v[12:13] neg_lo:[0,1] neg_hi:[0,1]
	v_mov_b32_e32 v15, v11
	v_pk_fma_f32 v[10:11], v[42:43], v[6:7], v[52:53] op_sel:[0,0,1] op_sel_hi:[1,1,0]
	v_pk_fma_f32 v[6:7], v[42:43], v[6:7], v[52:53] op_sel:[0,0,1] op_sel_hi:[1,1,0] neg_lo:[0,0,1] neg_hi:[0,0,1]
	v_pk_fma_f32 v[0:1], v[0:1], 2.0, v[12:13] op_sel_hi:[1,0,1] neg_lo:[0,0,1] neg_hi:[0,0,1]
	v_mov_b32_e32 v11, v7
	v_pk_add_f32 v[6:7], v[2:3], v[14:15] neg_lo:[0,1] neg_hi:[0,1]
	v_pk_add_f32 v[10:11], v[8:9], v[10:11] neg_lo:[0,1] neg_hi:[0,1]
	v_pk_fma_f32 v[2:3], v[2:3], 2.0, v[6:7] op_sel_hi:[1,0,1] neg_lo:[0,0,1] neg_hi:[0,0,1]
	v_pk_fma_f32 v[8:9], v[8:9], 2.0, v[10:11] op_sel_hi:[1,0,1] neg_lo:[0,0,1] neg_hi:[0,0,1]
	;; [unrolled: 1-line block ×3, first 2 shown]
	v_pk_add_f32 v[8:9], v[2:3], v[8:9] neg_lo:[0,1] neg_hi:[0,1]
	s_nop 0
	v_pk_fma_f32 v[2:3], v[2:3], 2.0, v[8:9] op_sel_hi:[1,0,1] neg_lo:[0,0,1] neg_hi:[0,0,1]
	ds_write2_b64 v55, v[0:1], v[2:3] offset1:44
	v_pk_add_f32 v[0:1], v[6:7], v[10:11] op_sel:[0,1] op_sel_hi:[1,0]
	v_pk_add_f32 v[2:3], v[6:7], v[10:11] op_sel:[0,1] op_sel_hi:[1,0] neg_lo:[0,1] neg_hi:[0,1]
	s_nop 0
	v_mov_b32_e32 v1, v3
	v_pk_fma_f32 v[2:3], v[6:7], 2.0, v[0:1] op_sel_hi:[1,0,1] neg_lo:[0,0,1] neg_hi:[0,0,1]
	ds_write2_b64 v55, v[4:5], v[2:3] offset0:99 offset1:143
	ds_write2_b64 v55, v[12:13], v[8:9] offset0:198 offset1:242
	;; [unrolled: 1-line block ×3, first 2 shown]
	s_and_saveexec_b64 s[10:11], s[0:1]
	s_cbranch_execz .LBB0_21
; %bb.20:
	v_pk_mul_f32 v[0:1], v[18:19], v[28:29] op_sel:[0,1]
	v_mov_b32_e32 v35, v41
	v_pk_fma_f32 v[6:7], v[18:19], v[28:29], v[0:1] op_sel:[0,0,1] op_sel_hi:[1,1,0]
	v_pk_fma_f32 v[0:1], v[18:19], v[28:29], v[0:1] op_sel:[0,0,1] op_sel_hi:[1,0,0] neg_lo:[1,0,0] neg_hi:[1,0,0]
	v_pk_mul_f32 v[2:3], v[16:17], v[36:37] op_sel:[0,1]
	v_mov_b32_e32 v4, v31
	v_mov_b32_e32 v7, v1
	v_pk_mul_f32 v[4:5], v[56:57], v[4:5] op_sel_hi:[1,0]
	v_pk_add_f32 v[0:1], v[34:35], v[6:7] neg_lo:[0,1] neg_hi:[0,1]
	v_pk_fma_f32 v[6:7], v[16:17], v[36:37], v[2:3] op_sel:[0,0,1] op_sel_hi:[1,1,0]
	v_pk_fma_f32 v[2:3], v[16:17], v[36:37], v[2:3] op_sel:[0,0,1] op_sel_hi:[1,0,0] neg_lo:[1,0,0] neg_hi:[1,0,0]
	s_nop 0
	v_mov_b32_e32 v7, v3
	v_pk_fma_f32 v[2:3], v[56:57], v[30:31], v[4:5] op_sel:[0,0,1] op_sel_hi:[1,1,0]
	v_pk_fma_f32 v[4:5], v[56:57], v[30:31], v[4:5] op_sel:[0,0,1] op_sel_hi:[1,0,0] neg_lo:[1,0,0] neg_hi:[1,0,0]
	s_nop 0
	v_mov_b32_e32 v3, v5
	v_pk_add_f32 v[2:3], v[6:7], v[2:3] neg_lo:[0,1] neg_hi:[0,1]
	v_pk_fma_f32 v[4:5], v[34:35], 2.0, v[0:1] op_sel_hi:[1,0,1] neg_lo:[0,0,1] neg_hi:[0,0,1]
	v_pk_fma_f32 v[6:7], v[6:7], 2.0, v[2:3] op_sel_hi:[1,0,1] neg_lo:[0,0,1] neg_hi:[0,0,1]
	v_pk_add_f32 v[8:9], v[0:1], v[2:3] op_sel:[0,1] op_sel_hi:[1,0]
	v_pk_add_f32 v[2:3], v[0:1], v[2:3] op_sel:[0,1] op_sel_hi:[1,0] neg_lo:[0,1] neg_hi:[0,1]
	v_pk_add_f32 v[6:7], v[4:5], v[6:7] neg_lo:[0,1] neg_hi:[0,1]
	v_mov_b32_e32 v9, v3
	v_pk_fma_f32 v[4:5], v[4:5], 2.0, v[6:7] op_sel_hi:[1,0,1] neg_lo:[0,0,1] neg_hi:[0,0,1]
	v_pk_fma_f32 v[0:1], v[0:1], 2.0, v[8:9] op_sel_hi:[1,0,1] neg_lo:[0,0,1] neg_hi:[0,0,1]
	ds_write2_b64 v55, v[4:5], v[0:1] offset0:88 offset1:187
	v_add_u32_e32 v0, 0x800, v55
	ds_write2_b64 v0, v[6:7], v[8:9] offset0:30 offset1:129
.LBB0_21:
	s_or_b64 exec, exec, s[10:11]
	s_waitcnt lgkmcnt(0)
	; wave barrier
	s_waitcnt lgkmcnt(0)
	s_and_b64 exec, exec, vcc
	s_cbranch_execz .LBB0_23
; %bb.22:
	global_load_dwordx2 v[8:9], v55, s[2:3]
	global_load_dwordx2 v[10:11], v55, s[2:3] offset:288
	global_load_dwordx2 v[12:13], v55, s[2:3] offset:576
	;; [unrolled: 1-line block ×3, first 2 shown]
	ds_read_b64 v[16:17], v55
	global_load_dwordx2 v[20:21], v55, s[2:3] offset:1152
	ds_read2_b64 v[0:3], v55 offset0:36 offset1:72
	ds_read2_b64 v[4:7], v55 offset0:108 offset1:144
	global_load_dwordx2 v[26:27], v55, s[2:3] offset:1440
	global_load_dwordx2 v[28:29], v55, s[2:3] offset:1728
	v_mov_b32_e32 v18, s8
	v_mov_b32_e32 v19, s9
	v_mad_u64_u32 v[24:25], s[8:9], s4, v128, 0
	v_mov_b32_e32 v32, v25
	v_mad_u64_u32 v[32:33], s[8:9], s5, v128, v[32:33]
	;; [unrolled: 2-line block ×3, first 2 shown]
	v_mov_b32_e32 v30, v23
	s_mov_b32 s0, 0xa052bf5b
	v_mad_u64_u32 v[30:31], s[8:9], s7, v54, v[30:31]
	s_mov_b32 s1, 0x3f64afd6
	v_mov_b32_e32 v23, v30
	v_lshl_add_u64 v[18:19], v[22:23], 3, v[18:19]
	v_mov_b32_e32 v36, 0x120
	v_lshl_add_u64 v[18:19], v[24:25], 3, v[18:19]
	s_mul_i32 s6, s5, 0x120
	v_mad_u64_u32 v[22:23], s[8:9], s4, v36, v[18:19]
	v_add_u32_e32 v23, s6, v23
	v_mad_u64_u32 v[24:25], s[8:9], s4, v36, v[22:23]
	v_add_u32_e32 v25, s6, v25
	;; [unrolled: 2-line block ×3, first 2 shown]
	s_waitcnt vmcnt(6) lgkmcnt(2)
	v_mul_f32_e32 v32, v17, v9
	v_mul_f32_e32 v9, v16, v9
	v_fmac_f32_e32 v32, v16, v8
	v_fma_f32 v16, v8, v17, -v9
	global_load_dwordx2 v[8:9], v55, s[2:3] offset:2016
	s_waitcnt vmcnt(5) lgkmcnt(1)
	v_mul_f32_e32 v34, v3, v13
	v_mul_f32_e32 v13, v2, v13
	s_waitcnt vmcnt(4) lgkmcnt(0)
	v_mul_f32_e32 v35, v5, v15
	v_mul_f32_e32 v15, v4, v15
	v_fmac_f32_e32 v34, v2, v12
	v_fma_f32 v17, v12, v3, -v13
	v_fmac_f32_e32 v35, v4, v14
	v_fma_f32 v37, v14, v5, -v15
	v_cvt_f64_f32_e32 v[2:3], v16
	v_cvt_f64_f32_e32 v[12:13], v34
	;; [unrolled: 1-line block ×4, first 2 shown]
	global_load_dwordx2 v[34:35], v55, s[2:3] offset:2304
	v_mul_f32_e32 v33, v1, v11
	v_mul_f32_e32 v11, v0, v11
	v_fmac_f32_e32 v33, v0, v10
	v_fma_f32 v10, v10, v1, -v11
	v_cvt_f64_f32_e32 v[0:1], v32
	v_cvt_f64_f32_e32 v[4:5], v33
	v_mul_f64 v[0:1], v[0:1], s[0:1]
	v_mul_f64 v[2:3], v[2:3], s[0:1]
	;; [unrolled: 1-line block ×4, first 2 shown]
	v_cvt_f32_f64_e32 v0, v[0:1]
	v_cvt_f32_f64_e32 v1, v[2:3]
	;; [unrolled: 1-line block ×4, first 2 shown]
	global_load_dwordx2 v[12:13], v55, s[2:3] offset:2592
	v_cvt_f64_f32_e32 v[10:11], v10
	global_store_dwordx2 v[18:19], v[0:1], off
	s_waitcnt vmcnt(6)
	v_mul_f32_e32 v0, v7, v21
	v_fmac_f32_e32 v0, v6, v20
	v_cvt_f64_f32_e32 v[32:33], v37
	v_mul_f64 v[10:11], v[10:11], s[0:1]
	v_cvt_f64_f32_e32 v[0:1], v0
	v_mul_f64 v[14:15], v[14:15], s[0:1]
	v_mul_f64 v[16:17], v[16:17], s[0:1]
	;; [unrolled: 1-line block ×3, first 2 shown]
	v_cvt_f32_f64_e32 v3, v[10:11]
	v_mul_f64 v[0:1], v[0:1], s[0:1]
	v_cvt_f32_f64_e32 v5, v[14:15]
	v_cvt_f32_f64_e32 v10, v[16:17]
	;; [unrolled: 1-line block ×3, first 2 shown]
	global_store_dwordx2 v[22:23], v[2:3], off
	global_store_dwordx2 v[24:25], v[4:5], off
	;; [unrolled: 1-line block ×3, first 2 shown]
	v_cvt_f32_f64_e32 v4, v[0:1]
	v_mul_f32_e32 v0, v6, v21
	v_fma_f32 v0, v20, v7, -v0
	global_load_dwordx2 v[6:7], v55, s[2:3] offset:2880
	v_cvt_f64_f32_e32 v[0:1], v0
	v_mul_f64 v[0:1], v[0:1], s[0:1]
	v_cvt_f32_f64_e32 v5, v[0:1]
	ds_read2_b64 v[0:3], v55 offset0:180 offset1:216
	v_mad_u64_u32 v[10:11], s[2:3], s4, v36, v[30:31]
	v_add_u32_e32 v11, s6, v11
	global_store_dwordx2 v[10:11], v[4:5], off
	s_waitcnt vmcnt(10) lgkmcnt(0)
	v_mul_f32_e32 v4, v1, v27
	v_fmac_f32_e32 v4, v0, v26
	v_mul_f32_e32 v0, v0, v27
	v_fma_f32 v0, v26, v1, -v0
	v_cvt_f64_f32_e32 v[4:5], v4
	v_cvt_f64_f32_e32 v[0:1], v0
	v_mul_f64 v[4:5], v[4:5], s[0:1]
	v_mul_f64 v[0:1], v[0:1], s[0:1]
	v_cvt_f32_f64_e32 v4, v[4:5]
	v_cvt_f32_f64_e32 v5, v[0:1]
	s_waitcnt vmcnt(9)
	v_mul_f32_e32 v0, v3, v29
	v_fmac_f32_e32 v0, v2, v28
	v_mad_u64_u32 v[10:11], s[2:3], s4, v36, v[10:11]
	v_cvt_f64_f32_e32 v[0:1], v0
	v_add_u32_e32 v11, s6, v11
	v_mul_f64 v[0:1], v[0:1], s[0:1]
	global_store_dwordx2 v[10:11], v[4:5], off
	v_cvt_f32_f64_e32 v4, v[0:1]
	v_mul_f32_e32 v0, v2, v29
	v_fma_f32 v0, v28, v3, -v0
	v_cvt_f64_f32_e32 v[0:1], v0
	v_mul_f64 v[0:1], v[0:1], s[0:1]
	v_cvt_f32_f64_e32 v5, v[0:1]
	v_add_u32_e32 v0, 0x400, v55
	ds_read2_b64 v[0:3], v0 offset0:124 offset1:160
	v_mad_u64_u32 v[10:11], s[2:3], s4, v36, v[10:11]
	v_add_u32_e32 v11, s6, v11
	global_store_dwordx2 v[10:11], v[4:5], off
	s_waitcnt vmcnt(10) lgkmcnt(0)
	v_mul_f32_e32 v4, v1, v9
	v_fmac_f32_e32 v4, v0, v8
	v_mul_f32_e32 v0, v0, v9
	v_fma_f32 v0, v8, v1, -v0
	v_cvt_f64_f32_e32 v[4:5], v4
	v_cvt_f64_f32_e32 v[0:1], v0
	v_mul_f64 v[4:5], v[4:5], s[0:1]
	v_mul_f64 v[0:1], v[0:1], s[0:1]
	v_cvt_f32_f64_e32 v4, v[4:5]
	v_cvt_f32_f64_e32 v5, v[0:1]
	s_waitcnt vmcnt(9)
	v_mul_f32_e32 v0, v3, v35
	v_fmac_f32_e32 v0, v2, v34
	v_mad_u64_u32 v[8:9], s[2:3], s4, v36, v[10:11]
	v_cvt_f64_f32_e32 v[0:1], v0
	v_add_u32_e32 v9, s6, v9
	v_mul_f64 v[0:1], v[0:1], s[0:1]
	global_store_dwordx2 v[8:9], v[4:5], off
	v_cvt_f32_f64_e32 v4, v[0:1]
	v_mul_f32_e32 v0, v2, v35
	v_fma_f32 v0, v34, v3, -v0
	v_cvt_f64_f32_e32 v[0:1], v0
	v_mul_f64 v[0:1], v[0:1], s[0:1]
	v_cvt_f32_f64_e32 v5, v[0:1]
	v_add_u32_e32 v0, 0x800, v55
	ds_read2_b64 v[0:3], v0 offset0:68 offset1:104
	v_mad_u64_u32 v[8:9], s[2:3], s4, v36, v[8:9]
	v_add_u32_e32 v9, s6, v9
	global_store_dwordx2 v[8:9], v[4:5], off
	s_waitcnt vmcnt(10) lgkmcnt(0)
	v_mul_f32_e32 v4, v1, v13
	v_fmac_f32_e32 v4, v0, v12
	v_mul_f32_e32 v0, v0, v13
	v_fma_f32 v0, v12, v1, -v0
	v_cvt_f64_f32_e32 v[4:5], v4
	v_cvt_f64_f32_e32 v[0:1], v0
	v_mul_f64 v[4:5], v[4:5], s[0:1]
	v_mul_f64 v[0:1], v[0:1], s[0:1]
	v_cvt_f32_f64_e32 v4, v[4:5]
	v_cvt_f32_f64_e32 v5, v[0:1]
	v_mad_u64_u32 v[0:1], s[2:3], s4, v36, v[8:9]
	v_add_u32_e32 v1, s6, v1
	global_store_dwordx2 v[0:1], v[4:5], off
	s_waitcnt vmcnt(6)
	v_mul_f32_e32 v4, v3, v7
	v_fmac_f32_e32 v4, v2, v6
	v_mul_f32_e32 v2, v2, v7
	v_fma_f32 v2, v6, v3, -v2
	v_cvt_f64_f32_e32 v[4:5], v4
	v_cvt_f64_f32_e32 v[2:3], v2
	v_mul_f64 v[4:5], v[4:5], s[0:1]
	v_mul_f64 v[2:3], v[2:3], s[0:1]
	v_mad_u64_u32 v[0:1], s[0:1], s4, v36, v[0:1]
	v_cvt_f32_f64_e32 v4, v[4:5]
	v_cvt_f32_f64_e32 v5, v[2:3]
	v_add_u32_e32 v1, s6, v1
	global_store_dwordx2 v[0:1], v[4:5], off
.LBB0_23:
	s_endpgm
	.section	.rodata,"a",@progbits
	.p2align	6, 0x0
	.amdhsa_kernel bluestein_single_fwd_len396_dim1_sp_op_CI_CI
		.amdhsa_group_segment_fixed_size 3168
		.amdhsa_private_segment_fixed_size 0
		.amdhsa_kernarg_size 104
		.amdhsa_user_sgpr_count 2
		.amdhsa_user_sgpr_dispatch_ptr 0
		.amdhsa_user_sgpr_queue_ptr 0
		.amdhsa_user_sgpr_kernarg_segment_ptr 1
		.amdhsa_user_sgpr_dispatch_id 0
		.amdhsa_user_sgpr_kernarg_preload_length 0
		.amdhsa_user_sgpr_kernarg_preload_offset 0
		.amdhsa_user_sgpr_private_segment_size 0
		.amdhsa_uses_dynamic_stack 0
		.amdhsa_enable_private_segment 0
		.amdhsa_system_sgpr_workgroup_id_x 1
		.amdhsa_system_sgpr_workgroup_id_y 0
		.amdhsa_system_sgpr_workgroup_id_z 0
		.amdhsa_system_sgpr_workgroup_info 0
		.amdhsa_system_vgpr_workitem_id 0
		.amdhsa_next_free_vgpr 152
		.amdhsa_next_free_sgpr 44
		.amdhsa_accum_offset 152
		.amdhsa_reserve_vcc 1
		.amdhsa_float_round_mode_32 0
		.amdhsa_float_round_mode_16_64 0
		.amdhsa_float_denorm_mode_32 3
		.amdhsa_float_denorm_mode_16_64 3
		.amdhsa_dx10_clamp 1
		.amdhsa_ieee_mode 1
		.amdhsa_fp16_overflow 0
		.amdhsa_tg_split 0
		.amdhsa_exception_fp_ieee_invalid_op 0
		.amdhsa_exception_fp_denorm_src 0
		.amdhsa_exception_fp_ieee_div_zero 0
		.amdhsa_exception_fp_ieee_overflow 0
		.amdhsa_exception_fp_ieee_underflow 0
		.amdhsa_exception_fp_ieee_inexact 0
		.amdhsa_exception_int_div_zero 0
	.end_amdhsa_kernel
	.text
.Lfunc_end0:
	.size	bluestein_single_fwd_len396_dim1_sp_op_CI_CI, .Lfunc_end0-bluestein_single_fwd_len396_dim1_sp_op_CI_CI
                                        ; -- End function
	.section	.AMDGPU.csdata,"",@progbits
; Kernel info:
; codeLenInByte = 9916
; NumSgprs: 50
; NumVgprs: 152
; NumAgprs: 0
; TotalNumVgprs: 152
; ScratchSize: 0
; MemoryBound: 0
; FloatMode: 240
; IeeeMode: 1
; LDSByteSize: 3168 bytes/workgroup (compile time only)
; SGPRBlocks: 6
; VGPRBlocks: 18
; NumSGPRsForWavesPerEU: 50
; NumVGPRsForWavesPerEU: 152
; AccumOffset: 152
; Occupancy: 3
; WaveLimiterHint : 1
; COMPUTE_PGM_RSRC2:SCRATCH_EN: 0
; COMPUTE_PGM_RSRC2:USER_SGPR: 2
; COMPUTE_PGM_RSRC2:TRAP_HANDLER: 0
; COMPUTE_PGM_RSRC2:TGID_X_EN: 1
; COMPUTE_PGM_RSRC2:TGID_Y_EN: 0
; COMPUTE_PGM_RSRC2:TGID_Z_EN: 0
; COMPUTE_PGM_RSRC2:TIDIG_COMP_CNT: 0
; COMPUTE_PGM_RSRC3_GFX90A:ACCUM_OFFSET: 37
; COMPUTE_PGM_RSRC3_GFX90A:TG_SPLIT: 0
	.text
	.p2alignl 6, 3212836864
	.fill 256, 4, 3212836864
	.type	__hip_cuid_64bf541a45f77032,@object ; @__hip_cuid_64bf541a45f77032
	.section	.bss,"aw",@nobits
	.globl	__hip_cuid_64bf541a45f77032
__hip_cuid_64bf541a45f77032:
	.byte	0                               ; 0x0
	.size	__hip_cuid_64bf541a45f77032, 1

	.ident	"AMD clang version 19.0.0git (https://github.com/RadeonOpenCompute/llvm-project roc-6.4.0 25133 c7fe45cf4b819c5991fe208aaa96edf142730f1d)"
	.section	".note.GNU-stack","",@progbits
	.addrsig
	.addrsig_sym __hip_cuid_64bf541a45f77032
	.amdgpu_metadata
---
amdhsa.kernels:
  - .agpr_count:     0
    .args:
      - .actual_access:  read_only
        .address_space:  global
        .offset:         0
        .size:           8
        .value_kind:     global_buffer
      - .actual_access:  read_only
        .address_space:  global
        .offset:         8
        .size:           8
        .value_kind:     global_buffer
      - .actual_access:  read_only
        .address_space:  global
        .offset:         16
        .size:           8
        .value_kind:     global_buffer
      - .actual_access:  read_only
        .address_space:  global
        .offset:         24
        .size:           8
        .value_kind:     global_buffer
      - .actual_access:  read_only
        .address_space:  global
        .offset:         32
        .size:           8
        .value_kind:     global_buffer
      - .offset:         40
        .size:           8
        .value_kind:     by_value
      - .address_space:  global
        .offset:         48
        .size:           8
        .value_kind:     global_buffer
      - .address_space:  global
        .offset:         56
        .size:           8
        .value_kind:     global_buffer
      - .address_space:  global
        .offset:         64
        .size:           8
        .value_kind:     global_buffer
      - .address_space:  global
        .offset:         72
        .size:           8
        .value_kind:     global_buffer
      - .offset:         80
        .size:           4
        .value_kind:     by_value
      - .address_space:  global
        .offset:         88
        .size:           8
        .value_kind:     global_buffer
      - .address_space:  global
        .offset:         96
        .size:           8
        .value_kind:     global_buffer
    .group_segment_fixed_size: 3168
    .kernarg_segment_align: 8
    .kernarg_segment_size: 104
    .language:       OpenCL C
    .language_version:
      - 2
      - 0
    .max_flat_workgroup_size: 44
    .name:           bluestein_single_fwd_len396_dim1_sp_op_CI_CI
    .private_segment_fixed_size: 0
    .sgpr_count:     50
    .sgpr_spill_count: 0
    .symbol:         bluestein_single_fwd_len396_dim1_sp_op_CI_CI.kd
    .uniform_work_group_size: 1
    .uses_dynamic_stack: false
    .vgpr_count:     152
    .vgpr_spill_count: 0
    .wavefront_size: 64
amdhsa.target:   amdgcn-amd-amdhsa--gfx950
amdhsa.version:
  - 1
  - 2
...

	.end_amdgpu_metadata
